;; amdgpu-corpus repo=ROCm/rocFFT kind=compiled arch=gfx1030 opt=O3
	.text
	.amdgcn_target "amdgcn-amd-amdhsa--gfx1030"
	.amdhsa_code_object_version 6
	.protected	fft_rtc_fwd_len480_factors_10_8_6_wgs_64_tpt_16_halfLds_half_op_CI_CI_unitstride_sbrr_R2C_dirReg ; -- Begin function fft_rtc_fwd_len480_factors_10_8_6_wgs_64_tpt_16_halfLds_half_op_CI_CI_unitstride_sbrr_R2C_dirReg
	.globl	fft_rtc_fwd_len480_factors_10_8_6_wgs_64_tpt_16_halfLds_half_op_CI_CI_unitstride_sbrr_R2C_dirReg
	.p2align	8
	.type	fft_rtc_fwd_len480_factors_10_8_6_wgs_64_tpt_16_halfLds_half_op_CI_CI_unitstride_sbrr_R2C_dirReg,@function
fft_rtc_fwd_len480_factors_10_8_6_wgs_64_tpt_16_halfLds_half_op_CI_CI_unitstride_sbrr_R2C_dirReg: ; @fft_rtc_fwd_len480_factors_10_8_6_wgs_64_tpt_16_halfLds_half_op_CI_CI_unitstride_sbrr_R2C_dirReg
; %bb.0:
	s_clause 0x2
	s_load_dwordx4 s[12:15], s[4:5], 0x0
	s_load_dwordx4 s[8:11], s[4:5], 0x58
	;; [unrolled: 1-line block ×3, first 2 shown]
	v_lshrrev_b32_e32 v10, 4, v0
	v_mov_b32_e32 v1, 0
	v_mov_b32_e32 v14, 0
	;; [unrolled: 1-line block ×3, first 2 shown]
	v_lshl_or_b32 v5, s6, 2, v10
	v_mov_b32_e32 v6, v1
	s_waitcnt lgkmcnt(0)
	v_cmp_lt_u64_e64 s0, s[14:15], 2
	s_and_b32 vcc_lo, exec_lo, s0
	s_cbranch_vccnz .LBB0_8
; %bb.1:
	s_load_dwordx2 s[0:1], s[4:5], 0x10
	v_mov_b32_e32 v14, 0
	v_mov_b32_e32 v15, 0
	s_add_u32 s2, s18, 8
	s_addc_u32 s3, s19, 0
	v_mov_b32_e32 v3, v14
	s_add_u32 s6, s16, 8
	v_mov_b32_e32 v4, v15
	s_addc_u32 s7, s17, 0
	s_mov_b64 s[22:23], 1
	s_waitcnt lgkmcnt(0)
	s_add_u32 s20, s0, 8
	s_addc_u32 s21, s1, 0
.LBB0_2:                                ; =>This Inner Loop Header: Depth=1
	s_load_dwordx2 s[24:25], s[20:21], 0x0
                                        ; implicit-def: $vgpr7_vgpr8
	s_mov_b32 s0, exec_lo
	s_waitcnt lgkmcnt(0)
	v_or_b32_e32 v2, s25, v6
	v_cmpx_ne_u64_e32 0, v[1:2]
	s_xor_b32 s1, exec_lo, s0
	s_cbranch_execz .LBB0_4
; %bb.3:                                ;   in Loop: Header=BB0_2 Depth=1
	v_cvt_f32_u32_e32 v2, s24
	v_cvt_f32_u32_e32 v7, s25
	s_sub_u32 s0, 0, s24
	s_subb_u32 s26, 0, s25
	v_fmac_f32_e32 v2, 0x4f800000, v7
	v_rcp_f32_e32 v2, v2
	v_mul_f32_e32 v2, 0x5f7ffffc, v2
	v_mul_f32_e32 v7, 0x2f800000, v2
	v_trunc_f32_e32 v7, v7
	v_fmac_f32_e32 v2, 0xcf800000, v7
	v_cvt_u32_f32_e32 v7, v7
	v_cvt_u32_f32_e32 v2, v2
	v_mul_lo_u32 v8, s0, v7
	v_mul_hi_u32 v9, s0, v2
	v_mul_lo_u32 v11, s26, v2
	v_add_nc_u32_e32 v8, v9, v8
	v_mul_lo_u32 v9, s0, v2
	v_add_nc_u32_e32 v8, v8, v11
	v_mul_hi_u32 v11, v2, v9
	v_mul_lo_u32 v12, v2, v8
	v_mul_hi_u32 v13, v2, v8
	v_mul_hi_u32 v16, v7, v9
	v_mul_lo_u32 v9, v7, v9
	v_mul_hi_u32 v17, v7, v8
	v_mul_lo_u32 v8, v7, v8
	v_add_co_u32 v11, vcc_lo, v11, v12
	v_add_co_ci_u32_e32 v12, vcc_lo, 0, v13, vcc_lo
	v_add_co_u32 v9, vcc_lo, v11, v9
	v_add_co_ci_u32_e32 v9, vcc_lo, v12, v16, vcc_lo
	v_add_co_ci_u32_e32 v11, vcc_lo, 0, v17, vcc_lo
	v_add_co_u32 v8, vcc_lo, v9, v8
	v_add_co_ci_u32_e32 v9, vcc_lo, 0, v11, vcc_lo
	v_add_co_u32 v2, vcc_lo, v2, v8
	v_add_co_ci_u32_e32 v7, vcc_lo, v7, v9, vcc_lo
	v_mul_hi_u32 v8, s0, v2
	v_mul_lo_u32 v11, s26, v2
	v_mul_lo_u32 v9, s0, v7
	v_add_nc_u32_e32 v8, v8, v9
	v_mul_lo_u32 v9, s0, v2
	v_add_nc_u32_e32 v8, v8, v11
	v_mul_hi_u32 v11, v2, v9
	v_mul_lo_u32 v12, v2, v8
	v_mul_hi_u32 v13, v2, v8
	v_mul_hi_u32 v16, v7, v9
	v_mul_lo_u32 v9, v7, v9
	v_mul_hi_u32 v17, v7, v8
	v_mul_lo_u32 v8, v7, v8
	v_add_co_u32 v11, vcc_lo, v11, v12
	v_add_co_ci_u32_e32 v12, vcc_lo, 0, v13, vcc_lo
	v_add_co_u32 v9, vcc_lo, v11, v9
	v_add_co_ci_u32_e32 v9, vcc_lo, v12, v16, vcc_lo
	v_add_co_ci_u32_e32 v11, vcc_lo, 0, v17, vcc_lo
	v_add_co_u32 v8, vcc_lo, v9, v8
	v_add_co_ci_u32_e32 v9, vcc_lo, 0, v11, vcc_lo
	v_add_co_u32 v2, vcc_lo, v2, v8
	v_add_co_ci_u32_e32 v9, vcc_lo, v7, v9, vcc_lo
	v_mul_hi_u32 v13, v5, v2
	v_mad_u64_u32 v[11:12], null, v6, v2, 0
	v_mad_u64_u32 v[7:8], null, v5, v9, 0
	;; [unrolled: 1-line block ×3, first 2 shown]
	v_add_co_u32 v2, vcc_lo, v13, v7
	v_add_co_ci_u32_e32 v7, vcc_lo, 0, v8, vcc_lo
	v_add_co_u32 v2, vcc_lo, v2, v11
	v_add_co_ci_u32_e32 v2, vcc_lo, v7, v12, vcc_lo
	v_add_co_ci_u32_e32 v7, vcc_lo, 0, v17, vcc_lo
	v_add_co_u32 v2, vcc_lo, v2, v16
	v_add_co_ci_u32_e32 v9, vcc_lo, 0, v7, vcc_lo
	v_mul_lo_u32 v11, s25, v2
	v_mad_u64_u32 v[7:8], null, s24, v2, 0
	v_mul_lo_u32 v12, s24, v9
	v_sub_co_u32 v7, vcc_lo, v5, v7
	v_add3_u32 v8, v8, v12, v11
	v_sub_nc_u32_e32 v11, v6, v8
	v_subrev_co_ci_u32_e64 v11, s0, s25, v11, vcc_lo
	v_add_co_u32 v12, s0, v2, 2
	v_add_co_ci_u32_e64 v13, s0, 0, v9, s0
	v_sub_co_u32 v16, s0, v7, s24
	v_sub_co_ci_u32_e32 v8, vcc_lo, v6, v8, vcc_lo
	v_subrev_co_ci_u32_e64 v11, s0, 0, v11, s0
	v_cmp_le_u32_e32 vcc_lo, s24, v16
	v_cmp_eq_u32_e64 s0, s25, v8
	v_cndmask_b32_e64 v16, 0, -1, vcc_lo
	v_cmp_le_u32_e32 vcc_lo, s25, v11
	v_cndmask_b32_e64 v17, 0, -1, vcc_lo
	v_cmp_le_u32_e32 vcc_lo, s24, v7
	;; [unrolled: 2-line block ×3, first 2 shown]
	v_cndmask_b32_e64 v18, 0, -1, vcc_lo
	v_cmp_eq_u32_e32 vcc_lo, s25, v11
	v_cndmask_b32_e64 v7, v18, v7, s0
	v_cndmask_b32_e32 v11, v17, v16, vcc_lo
	v_add_co_u32 v16, vcc_lo, v2, 1
	v_add_co_ci_u32_e32 v17, vcc_lo, 0, v9, vcc_lo
	v_cmp_ne_u32_e32 vcc_lo, 0, v11
	v_cndmask_b32_e32 v8, v17, v13, vcc_lo
	v_cndmask_b32_e32 v11, v16, v12, vcc_lo
	v_cmp_ne_u32_e32 vcc_lo, 0, v7
	v_cndmask_b32_e32 v8, v9, v8, vcc_lo
	v_cndmask_b32_e32 v7, v2, v11, vcc_lo
.LBB0_4:                                ;   in Loop: Header=BB0_2 Depth=1
	s_andn2_saveexec_b32 s0, s1
	s_cbranch_execz .LBB0_6
; %bb.5:                                ;   in Loop: Header=BB0_2 Depth=1
	v_cvt_f32_u32_e32 v2, s24
	s_sub_i32 s1, 0, s24
	v_rcp_iflag_f32_e32 v2, v2
	v_mul_f32_e32 v2, 0x4f7ffffe, v2
	v_cvt_u32_f32_e32 v2, v2
	v_mul_lo_u32 v7, s1, v2
	v_mul_hi_u32 v7, v2, v7
	v_add_nc_u32_e32 v2, v2, v7
	v_mul_hi_u32 v2, v5, v2
	v_mul_lo_u32 v7, v2, s24
	v_add_nc_u32_e32 v8, 1, v2
	v_sub_nc_u32_e32 v7, v5, v7
	v_subrev_nc_u32_e32 v9, s24, v7
	v_cmp_le_u32_e32 vcc_lo, s24, v7
	v_cndmask_b32_e32 v7, v7, v9, vcc_lo
	v_cndmask_b32_e32 v2, v2, v8, vcc_lo
	v_cmp_le_u32_e32 vcc_lo, s24, v7
	v_add_nc_u32_e32 v8, 1, v2
	v_cndmask_b32_e32 v7, v2, v8, vcc_lo
	v_mov_b32_e32 v8, v1
.LBB0_6:                                ;   in Loop: Header=BB0_2 Depth=1
	s_or_b32 exec_lo, exec_lo, s0
	v_mul_lo_u32 v2, v8, s24
	v_mul_lo_u32 v9, v7, s25
	s_load_dwordx2 s[0:1], s[6:7], 0x0
	v_mad_u64_u32 v[11:12], null, v7, s24, 0
	s_load_dwordx2 s[24:25], s[2:3], 0x0
	s_add_u32 s22, s22, 1
	s_addc_u32 s23, s23, 0
	s_add_u32 s2, s2, 8
	s_addc_u32 s3, s3, 0
	s_add_u32 s6, s6, 8
	v_add3_u32 v2, v12, v9, v2
	v_sub_co_u32 v5, vcc_lo, v5, v11
	s_addc_u32 s7, s7, 0
	s_add_u32 s20, s20, 8
	v_sub_co_ci_u32_e32 v2, vcc_lo, v6, v2, vcc_lo
	s_addc_u32 s21, s21, 0
	s_waitcnt lgkmcnt(0)
	v_mul_lo_u32 v6, s0, v2
	v_mul_lo_u32 v9, s1, v5
	v_mad_u64_u32 v[14:15], null, s0, v5, v[14:15]
	v_mul_lo_u32 v2, s24, v2
	v_mul_lo_u32 v11, s25, v5
	v_mad_u64_u32 v[3:4], null, s24, v5, v[3:4]
	v_cmp_ge_u64_e64 s0, s[22:23], s[14:15]
	v_add3_u32 v15, v9, v15, v6
	v_add3_u32 v4, v11, v4, v2
	s_and_b32 vcc_lo, exec_lo, s0
	s_cbranch_vccnz .LBB0_9
; %bb.7:                                ;   in Loop: Header=BB0_2 Depth=1
	v_mov_b32_e32 v5, v7
	v_mov_b32_e32 v6, v8
	s_branch .LBB0_2
.LBB0_8:
	v_mov_b32_e32 v3, v14
	v_mov_b32_e32 v8, v6
	;; [unrolled: 1-line block ×4, first 2 shown]
.LBB0_9:
	s_load_dwordx2 s[0:1], s[4:5], 0x28
	s_lshl_b64 s[4:5], s[14:15], 3
	v_and_b32_e32 v1, 15, v0
	s_add_u32 s2, s18, s4
	s_addc_u32 s3, s19, s5
                                        ; implicit-def: $vgpr11
                                        ; implicit-def: $vgpr5
                                        ; implicit-def: $vgpr13
                                        ; implicit-def: $vgpr9
	s_waitcnt lgkmcnt(0)
	v_cmp_gt_u64_e32 vcc_lo, s[0:1], v[7:8]
	v_cmp_le_u64_e64 s0, s[0:1], v[7:8]
	s_and_saveexec_b32 s1, s0
	s_xor_b32 s0, exec_lo, s1
; %bb.10:
	v_and_b32_e32 v11, 15, v0
                                        ; implicit-def: $vgpr14_vgpr15
                                        ; implicit-def: $vgpr1
	v_or_b32_e32 v5, 16, v11
	v_or_b32_e32 v13, 32, v11
	;; [unrolled: 1-line block ×3, first 2 shown]
; %bb.11:
	s_or_saveexec_b32 s1, s0
	v_mul_u32_u24_e32 v0, 0x1e1, v10
	v_lshlrev_b32_e32 v10, 2, v0
	s_xor_b32 exec_lo, exec_lo, s1
	s_cbranch_execz .LBB0_13
; %bb.12:
	s_add_u32 s4, s16, s4
	s_addc_u32 s5, s17, s5
	v_lshlrev_b64 v[11:12], 2, v[14:15]
	s_load_dwordx2 s[4:5], s[4:5], 0x0
	v_lshlrev_b32_e32 v9, 2, v1
	v_or_b32_e32 v13, 32, v1
	v_add3_u32 v40, 0, v10, v9
	v_add_nc_u32_e32 v41, 0x400, v40
	s_waitcnt lgkmcnt(0)
	v_mul_lo_u32 v0, s5, v7
	v_mul_lo_u32 v2, s4, v8
	v_mad_u64_u32 v[5:6], null, s4, v7, 0
	v_add3_u32 v6, v6, v2, v0
	v_lshlrev_b64 v[5:6], 2, v[5:6]
	v_add_co_u32 v0, s0, s8, v5
	v_add_co_ci_u32_e64 v2, s0, s9, v6, s0
	v_add_co_u32 v0, s0, v0, v11
	v_add_co_ci_u32_e64 v2, s0, v2, v12, s0
	v_mov_b32_e32 v11, v1
	v_add_co_u32 v5, s0, v0, v9
	v_add_co_ci_u32_e64 v6, s0, 0, v2, s0
	v_or_b32_e32 v9, 48, v1
	s_clause 0x1d
	global_load_dword v0, v[5:6], off
	global_load_dword v2, v[5:6], off offset:64
	global_load_dword v12, v[5:6], off offset:128
	global_load_dword v14, v[5:6], off offset:192
	global_load_dword v15, v[5:6], off offset:256
	global_load_dword v16, v[5:6], off offset:320
	global_load_dword v17, v[5:6], off offset:384
	global_load_dword v18, v[5:6], off offset:448
	global_load_dword v19, v[5:6], off offset:512
	global_load_dword v20, v[5:6], off offset:576
	global_load_dword v21, v[5:6], off offset:640
	global_load_dword v22, v[5:6], off offset:704
	global_load_dword v23, v[5:6], off offset:768
	global_load_dword v24, v[5:6], off offset:832
	global_load_dword v25, v[5:6], off offset:896
	global_load_dword v26, v[5:6], off offset:960
	global_load_dword v27, v[5:6], off offset:1024
	global_load_dword v28, v[5:6], off offset:1088
	global_load_dword v29, v[5:6], off offset:1152
	global_load_dword v30, v[5:6], off offset:1216
	global_load_dword v31, v[5:6], off offset:1280
	global_load_dword v32, v[5:6], off offset:1344
	global_load_dword v33, v[5:6], off offset:1408
	global_load_dword v34, v[5:6], off offset:1472
	global_load_dword v35, v[5:6], off offset:1536
	global_load_dword v36, v[5:6], off offset:1600
	global_load_dword v37, v[5:6], off offset:1664
	global_load_dword v38, v[5:6], off offset:1728
	global_load_dword v39, v[5:6], off offset:1792
	global_load_dword v6, v[5:6], off offset:1856
	v_or_b32_e32 v5, 16, v1
	s_waitcnt vmcnt(28)
	ds_write2_b32 v40, v0, v2 offset1:16
	s_waitcnt vmcnt(26)
	ds_write2_b32 v40, v12, v14 offset0:32 offset1:48
	s_waitcnt vmcnt(24)
	ds_write2_b32 v40, v15, v16 offset0:64 offset1:80
	;; [unrolled: 2-line block ×7, first 2 shown]
	s_waitcnt vmcnt(12)
	ds_write2_b32 v41, v27, v28 offset1:16
	s_waitcnt vmcnt(10)
	ds_write2_b32 v41, v29, v30 offset0:32 offset1:48
	s_waitcnt vmcnt(8)
	ds_write2_b32 v41, v31, v32 offset0:64 offset1:80
	;; [unrolled: 2-line block ×6, first 2 shown]
.LBB0_13:
	s_or_b32 exec_lo, exec_lo, s1
	v_lshlrev_b32_e32 v2, 2, v11
	s_load_dwordx2 s[2:3], s[2:3], 0x0
	s_waitcnt lgkmcnt(0)
	s_barrier
	buffer_gl0_inv
	v_add_nc_u32_e32 v0, 0, v2
	v_mul_u32_u24_e32 v114, 10, v11
	v_cmp_gt_u32_e64 s0, 12, v11
	v_add_nc_u32_e32 v6, v0, v10
	ds_read2_b32 v[56:57], v6 offset0:112 offset1:128
	ds_read2_b32 v[35:36], v6 offset0:208 offset1:224
	;; [unrolled: 1-line block ×3, first 2 shown]
	v_add_nc_u32_e32 v12, 0x400, v6
	v_add_nc_u32_e32 v47, 0x200, v6
	ds_read2_b32 v[20:21], v12 offset0:48 offset1:64
	ds_read2_b32 v[22:23], v12 offset0:144 offset1:160
	;; [unrolled: 1-line block ×11, first 2 shown]
	ds_read_b32 v105, v6 offset:1856
	s_waitcnt lgkmcnt(13)
	v_sub_f16_e32 v43, v57, v36
	s_waitcnt lgkmcnt(12)
	v_pk_add_f16 v0, v17, v57
	v_pk_add_f16 v26, v16, v56
	v_sub_f16_e32 v40, v36, v57
	v_sub_f16_sdwa v39, v57, v36 dst_sel:DWORD dst_unused:UNUSED_PAD src0_sel:WORD_1 src1_sel:WORD_1
	v_sub_f16_sdwa v38, v36, v57 dst_sel:DWORD dst_unused:UNUSED_PAD src0_sel:WORD_1 src1_sel:WORD_1
	v_pk_add_f16 v0, v0, v36
	s_waitcnt lgkmcnt(11)
	v_add_f16_e32 v54, v36, v21
	v_sub_f16_sdwa v50, v36, v21 dst_sel:DWORD dst_unused:UNUSED_PAD src0_sel:WORD_1 src1_sel:WORD_1
	s_waitcnt lgkmcnt(10)
	v_sub_f16_e32 v53, v23, v21
	v_sub_f16_e32 v51, v21, v23
	v_pk_add_f16 v0, v0, v21
	v_add_f16_sdwa v52, v36, v21 dst_sel:DWORD dst_unused:UNUSED_PAD src0_sel:WORD_1 src1_sel:WORD_1
	v_sub_f16_e32 v44, v36, v21
	v_sub_f16_sdwa v48, v23, v21 dst_sel:DWORD dst_unused:UNUSED_PAD src0_sel:WORD_1 src1_sel:WORD_1
	v_sub_f16_sdwa v45, v21, v23 dst_sel:DWORD dst_unused:UNUSED_PAD src0_sel:WORD_1 src1_sel:WORD_1
	v_pk_add_f16 v21, v0, v23
	s_waitcnt lgkmcnt(8)
	v_pk_add_f16 v0, v19, v68
	v_pk_add_f16 v42, v18, v67
	;; [unrolled: 1-line block ×3, first 2 shown]
	s_waitcnt lgkmcnt(6)
	v_add_f16_e32 v81, v64, v14
	v_sub_f16_e32 v24, v56, v35
	v_pk_add_f16 v79, v0, v65
	v_add_nc_u32_e32 v0, 0, v10
	v_pk_add_f16 v80, v42, v64
	v_pk_add_f16 v27, v27, v20
	v_sub_f16_e32 v25, v35, v56
	v_sub_f16_sdwa v46, v57, v23 dst_sel:DWORD dst_unused:UNUSED_PAD src0_sel:WORD_1 src1_sel:WORD_1
	v_add_nc_u32_e32 v42, v0, v2
	v_add_f16_e32 v55, v57, v23
	v_sub_f16_e32 v41, v57, v23
	v_add_f16_sdwa v49, v57, v23 dst_sel:DWORD dst_unused:UNUSED_PAD src0_sel:WORD_1 src1_sel:WORD_1
	v_add_f16_e32 v34, v35, v20
	ds_read_b32 v95, v42
	v_sub_f16_sdwa v26, v56, v22 dst_sel:DWORD dst_unused:UNUSED_PAD src0_sel:WORD_1 src1_sel:WORD_1
	v_sub_f16_sdwa v29, v35, v20 dst_sel:DWORD dst_unused:UNUSED_PAD src0_sel:WORD_1 src1_sel:WORD_1
	v_sub_f16_e32 v32, v22, v20
	v_add_f16_e32 v33, v56, v22
	v_sub_f16_e32 v28, v20, v22
	v_add_f16_sdwa v30, v35, v20 dst_sel:DWORD dst_unused:UNUSED_PAD src0_sel:WORD_1 src1_sel:WORD_1
	v_pk_add_f16 v23, v27, v22
	v_sub_f16_e32 v27, v35, v20
	v_sub_f16_sdwa v31, v56, v35 dst_sel:DWORD dst_unused:UNUSED_PAD src0_sel:WORD_1 src1_sel:WORD_1
	v_sub_f16_sdwa v36, v35, v56 dst_sel:DWORD dst_unused:UNUSED_PAD src0_sel:WORD_1 src1_sel:WORD_1
	v_sub_f16_e32 v35, v56, v22
	v_add_f16_sdwa v37, v56, v22 dst_sel:DWORD dst_unused:UNUSED_PAD src0_sel:WORD_1 src1_sel:WORD_1
	v_sub_f16_sdwa v57, v22, v20 dst_sel:DWORD dst_unused:UNUSED_PAD src0_sel:WORD_1 src1_sel:WORD_1
	v_sub_f16_sdwa v56, v20, v22 dst_sel:DWORD dst_unused:UNUSED_PAD src0_sel:WORD_1 src1_sel:WORD_1
	v_add_f16_e32 v20, v65, v15
	v_sub_f16_sdwa v62, v65, v15 dst_sel:DWORD dst_unused:UNUSED_PAD src0_sel:WORD_1 src1_sel:WORD_1
	v_sub_f16_e32 v63, v68, v65
	v_sub_f16_e32 v59, v65, v68
	v_add_f16_sdwa v61, v65, v15 dst_sel:DWORD dst_unused:UNUSED_PAD src0_sel:WORD_1 src1_sel:WORD_1
	v_sub_f16_e32 v22, v65, v15
	v_sub_f16_sdwa v60, v68, v65 dst_sel:DWORD dst_unused:UNUSED_PAD src0_sel:WORD_1 src1_sel:WORD_1
	v_sub_f16_sdwa v58, v65, v68 dst_sel:DWORD dst_unused:UNUSED_PAD src0_sel:WORD_1 src1_sel:WORD_1
	;; [unrolled: 1-line block ×3, first 2 shown]
	v_sub_f16_e32 v83, v67, v64
	v_sub_f16_e32 v84, v64, v67
	v_add_f16_sdwa v85, v64, v14 dst_sel:DWORD dst_unused:UNUSED_PAD src0_sel:WORD_1 src1_sel:WORD_1
	v_sub_f16_e32 v86, v64, v14
	v_sub_f16_sdwa v87, v67, v64 dst_sel:DWORD dst_unused:UNUSED_PAD src0_sel:WORD_1 src1_sel:WORD_1
	v_sub_f16_sdwa v88, v64, v67 dst_sel:DWORD dst_unused:UNUSED_PAD src0_sel:WORD_1 src1_sel:WORD_1
	s_waitcnt lgkmcnt(6)
	v_sub_f16_sdwa v65, v68, v70 dst_sel:DWORD dst_unused:UNUSED_PAD src0_sel:WORD_1 src1_sel:WORD_1
	v_add_f16_e32 v89, v68, v70
	v_sub_f16_e32 v64, v68, v70
	v_add_f16_sdwa v66, v68, v70 dst_sel:DWORD dst_unused:UNUSED_PAD src0_sel:WORD_1 src1_sel:WORD_1
	v_sub_f16_sdwa v68, v67, v69 dst_sel:DWORD dst_unused:UNUSED_PAD src0_sel:WORD_1 src1_sel:WORD_1
	v_sub_f16_e32 v98, v69, v14
	v_lshrrev_b32_e32 v100, 16, v18
	v_fma_f16 v81, -0.5, v81, v18
	v_sub_f16_e32 v91, v67, v69
	v_sub_f16_sdwa v101, v69, v14 dst_sel:DWORD dst_unused:UNUSED_PAD src0_sel:WORD_1 src1_sel:WORD_1
	v_add_f16_e32 v83, v83, v98
	v_fma_f16 v85, -0.5, v85, v100
	v_fmamk_f16 v98, v68, 0x3b9c, v81
	s_waitcnt lgkmcnt(2)
	v_add_f16_e32 v103, v78, v72
	v_add_f16_sdwa v104, v78, v72 dst_sel:DWORD dst_unused:UNUSED_PAD src0_sel:WORD_1 src1_sel:WORD_1
	s_waitcnt lgkmcnt(0)
	v_lshrrev_b32_e32 v106, 16, v95
	v_pk_add_f16 v79, v79, v15
	v_sub_f16_e32 v92, v70, v15
	v_sub_f16_e32 v93, v15, v70
	v_sub_f16_sdwa v94, v70, v15 dst_sel:DWORD dst_unused:UNUSED_PAD src0_sel:WORD_1 src1_sel:WORD_1
	v_sub_f16_sdwa v96, v15, v70 dst_sel:DWORD dst_unused:UNUSED_PAD src0_sel:WORD_1 src1_sel:WORD_1
	v_sub_f16_e32 v15, v74, v72
	v_sub_f16_e32 v97, v76, v78
	v_add_f16_e32 v87, v87, v101
	v_fmamk_f16 v101, v91, 0xbb9c, v85
	v_fmac_f16_e32 v98, 0x38b4, v82
	v_fma_f16 v103, -0.5, v103, v95
	v_sub_f16_sdwa v107, v76, v74 dst_sel:DWORD dst_unused:UNUSED_PAD src0_sel:WORD_1 src1_sel:WORD_1
	v_fma_f16 v104, -0.5, v104, v106
	v_sub_f16_e32 v108, v76, v74
	v_add_f16_e32 v15, v97, v15
	v_sub_f16_sdwa v97, v76, v78 dst_sel:DWORD dst_unused:UNUSED_PAD src0_sel:WORD_1 src1_sel:WORD_1
	v_sub_f16_sdwa v102, v74, v72 dst_sel:DWORD dst_unused:UNUSED_PAD src0_sel:WORD_1 src1_sel:WORD_1
	v_fmac_f16_e32 v101, 0xb8b4, v86
	v_fmac_f16_e32 v98, 0x34f2, v83
	v_fmamk_f16 v109, v107, 0x3b9c, v103
	v_sub_f16_sdwa v110, v78, v72 dst_sel:DWORD dst_unused:UNUSED_PAD src0_sel:WORD_1 src1_sel:WORD_1
	v_fmamk_f16 v111, v108, 0xbb9c, v104
	v_sub_f16_e32 v112, v78, v72
	v_fmac_f16_e32 v101, 0x34f2, v87
	v_mul_f16_e32 v113, 0x3a79, v98
	v_add_f16_e32 v97, v97, v102
	v_mul_f16_e32 v98, 0xb8b4, v98
	v_fmac_f16_e32 v109, 0x38b4, v110
	v_fmac_f16_e32 v111, 0xb8b4, v112
	;; [unrolled: 1-line block ×3, first 2 shown]
	v_pk_add_f16 v102, v95, v76
	v_fmac_f16_e32 v98, 0x3a79, v101
	v_fmac_f16_e32 v109, 0x34f2, v15
	v_fmac_f16_e32 v111, 0x34f2, v97
	v_add_f16_e32 v90, v67, v69
	v_add_f16_sdwa v67, v67, v69 dst_sel:DWORD dst_unused:UNUSED_PAD src0_sel:WORD_1 src1_sel:WORD_1
	v_pk_add_f16 v80, v80, v14
	v_pk_add_f16 v101, v102, v78
	;; [unrolled: 1-line block ×3, first 2 shown]
	v_add_f16_e32 v79, v109, v113
	v_add_f16_e32 v102, v111, v98
	v_sub_f16_e32 v99, v14, v69
	v_sub_f16_sdwa v14, v14, v69 dst_sel:DWORD dst_unused:UNUSED_PAD src0_sel:WORD_1 src1_sel:WORD_1
	v_pk_add_f16 v101, v101, v72
	v_add_f16_e32 v115, v76, v74
	v_pk_add_f16 v69, v80, v69
	v_pack_b32_f16 v79, v79, v102
	v_lshl_add_u32 v80, v114, 2, v0
	v_sub_f16_e32 v102, v72, v74
	v_sub_f16_e32 v114, v78, v76
	v_add_f16_sdwa v116, v76, v74 dst_sel:DWORD dst_unused:UNUSED_PAD src0_sel:WORD_1 src1_sel:WORD_1
	v_sub_f16_sdwa v76, v78, v76 dst_sel:DWORD dst_unused:UNUSED_PAD src0_sel:WORD_1 src1_sel:WORD_1
	v_sub_f16_sdwa v72, v72, v74 dst_sel:DWORD dst_unused:UNUSED_PAD src0_sel:WORD_1 src1_sel:WORD_1
	v_fmac_f16_e32 v100, -0.5, v67
	v_fma_f16 v18, -0.5, v90, v18
	v_fmac_f16_e32 v106, -0.5, v116
	v_add_f16_e32 v14, v88, v14
	v_add_f16_e32 v72, v76, v72
	v_fmamk_f16 v76, v86, 0x3b9c, v100
	v_fmamk_f16 v67, v82, 0xbb9c, v18
	v_fmac_f16_e32 v18, 0x3b9c, v82
	v_fmac_f16_e32 v100, 0xbb9c, v86
	v_pk_add_f16 v101, v101, v74
	v_fmac_f16_e32 v76, 0xb8b4, v91
	v_fma_f16 v95, -0.5, v115, v95
	v_fmamk_f16 v74, v112, 0x3b9c, v106
	v_fmac_f16_e32 v106, 0xbb9c, v112
	v_add_f16_e32 v78, v84, v99
	v_fmac_f16_e32 v18, 0xb8b4, v68
	v_fmac_f16_e32 v100, 0x38b4, v91
	;; [unrolled: 1-line block ×6, first 2 shown]
	v_fmamk_f16 v115, v110, 0xbb9c, v95
	v_fmac_f16_e32 v95, 0x3b9c, v110
	v_fmac_f16_e32 v74, 0xb8b4, v108
	;; [unrolled: 1-line block ×6, first 2 shown]
	v_mul_f16_e32 v78, 0x3b9c, v76
	v_fmac_f16_e32 v81, 0xb8b4, v82
	v_fmac_f16_e32 v85, 0x38b4, v86
	v_add_f16_e32 v102, v114, v102
	v_fmac_f16_e32 v115, 0x38b4, v107
	v_fmac_f16_e32 v95, 0xb8b4, v107
	v_fmac_f16_e32 v74, 0x34f2, v72
	v_fmac_f16_e32 v106, 0x34f2, v72
	v_mul_f16_e32 v14, 0x34f2, v18
	v_mul_f16_e32 v72, 0x34f2, v100
	v_fmac_f16_e32 v78, 0x34f2, v67
	v_mul_f16_e32 v67, 0xbb9c, v67
	v_fmac_f16_e32 v103, 0xbb9c, v107
	v_fmac_f16_e32 v81, 0x34f2, v83
	;; [unrolled: 1-line block ×5, first 2 shown]
	v_fma_f16 v68, v100, 0x3b9c, -v14
	v_fma_f16 v18, v18, 0xbb9c, -v72
	v_fmac_f16_e32 v67, 0x34f2, v76
	v_fmac_f16_e32 v103, 0xb8b4, v110
	v_mul_f16_e32 v14, 0x3a79, v81
	v_mul_f16_e32 v72, 0x3a79, v85
	v_add_f16_e32 v76, v95, v68
	v_fma_f16 v54, -0.5, v54, v17
	v_fmac_f16_e32 v103, 0x34f2, v15
	v_fma_f16 v82, v85, 0x38b4, -v14
	v_fma_f16 v72, v81, 0xb8b4, -v72
	v_add_f16_e32 v14, v106, v18
	v_add_f16_e32 v15, v115, v78
	;; [unrolled: 1-line block ×3, first 2 shown]
	v_fma_f16 v55, -0.5, v55, v17
	v_lshrrev_b32_e32 v17, 16, v17
	v_pack_b32_f16 v14, v76, v14
	v_pack_b32_f16 v15, v15, v81
	s_barrier
	buffer_gl0_inv
	v_add_f16_e32 v40, v40, v51
	v_fma_f16 v51, -0.5, v52, v17
	ds_write2_b32 v80, v15, v14 offset0:2 offset1:3
	v_add_f16_e32 v14, v43, v53
	v_fmamk_f16 v43, v46, 0x3b9c, v54
	v_fmac_f16_e32 v54, 0xbb9c, v46
	v_fmamk_f16 v15, v50, 0xbb9c, v55
	v_fmac_f16_e32 v55, 0x3b9c, v50
	v_fmac_f16_e32 v17, -0.5, v49
	v_fmac_f16_e32 v43, 0x38b4, v50
	v_fmac_f16_e32 v54, 0xb8b4, v50
	;; [unrolled: 1-line block ×4, first 2 shown]
	v_fmamk_f16 v46, v41, 0xbb9c, v51
	v_fmac_f16_e32 v51, 0x3b9c, v41
	v_fmac_f16_e32 v43, 0x34f2, v14
	;; [unrolled: 1-line block ×3, first 2 shown]
	v_add_f16_e32 v14, v39, v48
	v_fmac_f16_e32 v46, 0xb8b4, v44
	v_fmac_f16_e32 v51, 0x38b4, v44
	;; [unrolled: 1-line block ×5, first 2 shown]
	v_fmamk_f16 v39, v44, 0x3b9c, v17
	v_fmac_f16_e32 v17, 0xbb9c, v44
	v_fmac_f16_e32 v46, 0x34f2, v14
	;; [unrolled: 1-line block ×3, first 2 shown]
	v_add_f16_e32 v14, v38, v45
	v_add_f16_e32 v38, v71, v73
	v_sub_f16_e32 v40, v105, v73
	v_sub_f16_e32 v44, v77, v71
	v_add_f16_e32 v45, v77, v105
	v_fmac_f16_e32 v104, 0x38b4, v112
	v_fmac_f16_e32 v39, 0xb8b4, v41
	v_fma_f16 v38, -0.5, v38, v75
	v_sub_f16_sdwa v48, v77, v105 dst_sel:DWORD dst_unused:UNUSED_PAD src0_sel:WORD_1 src1_sel:WORD_1
	v_fmac_f16_e32 v17, 0x38b4, v41
	v_add_f16_e32 v40, v44, v40
	v_fma_f16 v41, -0.5, v45, v75
	v_sub_f16_sdwa v44, v71, v73 dst_sel:DWORD dst_unused:UNUSED_PAD src0_sel:WORD_1 src1_sel:WORD_1
	v_fmac_f16_e32 v104, 0x34f2, v97
	v_fmamk_f16 v45, v48, 0x3b9c, v38
	v_fmac_f16_e32 v38, 0xbb9c, v48
	v_sub_f16_e32 v49, v73, v105
	v_sub_f16_e32 v50, v71, v77
	v_fmamk_f16 v52, v44, 0xbb9c, v41
	v_fmac_f16_e32 v41, 0x3b9c, v44
	v_add_f16_e32 v83, v103, v82
	v_add_f16_e32 v84, v104, v72
	v_fmac_f16_e32 v45, 0x38b4, v44
	v_fmac_f16_e32 v38, 0xb8b4, v44
	v_add_f16_e32 v44, v50, v49
	v_fmac_f16_e32 v52, 0x38b4, v48
	v_fmac_f16_e32 v41, 0xb8b4, v48
	;; [unrolled: 1-line block ×4, first 2 shown]
	v_lshrrev_b32_e32 v48, 16, v75
	v_add_f16_sdwa v14, v71, v73 dst_sel:DWORD dst_unused:UNUSED_PAD src0_sel:WORD_1 src1_sel:WORD_1
	v_add_f16_sdwa v49, v77, v105 dst_sel:DWORD dst_unused:UNUSED_PAD src0_sel:WORD_1 src1_sel:WORD_1
	v_pk_add_f16 v85, v101, v69
	v_pk_add_f16 v69, v101, v69 neg_lo:[0,1] neg_hi:[0,1]
	v_pack_b32_f16 v76, v83, v84
	v_fmac_f16_e32 v45, 0x34f2, v40
	v_fmac_f16_e32 v38, 0x34f2, v40
	v_sub_f16_e32 v40, v71, v73
	v_fma_f16 v50, -0.5, v14, v48
	v_fmac_f16_e32 v48, -0.5, v49
	ds_write2_b32 v80, v76, v69 offset0:4 offset1:5
	v_pk_add_f16 v14, v75, v77
	v_sub_f16_sdwa v49, v71, v77 dst_sel:DWORD dst_unused:UNUSED_PAD src0_sel:WORD_1 src1_sel:WORD_1
	v_sub_f16_e32 v53, v77, v105
	v_sub_f16_sdwa v69, v73, v105 dst_sel:DWORD dst_unused:UNUSED_PAD src0_sel:WORD_1 src1_sel:WORD_1
	v_fmamk_f16 v75, v40, 0x3b9c, v48
	v_fmac_f16_e32 v52, 0x34f2, v44
	v_fmac_f16_e32 v41, 0x34f2, v44
	;; [unrolled: 1-line block ×3, first 2 shown]
	v_add_f16_e32 v44, v49, v69
	v_fmac_f16_e32 v75, 0xb8b4, v53
	v_pk_add_f16 v14, v14, v71
	v_sub_f16_sdwa v49, v77, v71 dst_sel:DWORD dst_unused:UNUSED_PAD src0_sel:WORD_1 src1_sel:WORD_1
	v_sub_f16_sdwa v69, v105, v73 dst_sel:DWORD dst_unused:UNUSED_PAD src0_sel:WORD_1 src1_sel:WORD_1
	v_fmamk_f16 v71, v53, 0xbb9c, v50
	v_fmac_f16_e32 v75, 0x34f2, v44
	v_fmac_f16_e32 v48, 0x38b4, v53
	;; [unrolled: 1-line block ×3, first 2 shown]
	v_add_f16_e32 v49, v49, v69
	v_fmac_f16_e32 v71, 0xb8b4, v40
	v_mul_f16_e32 v53, 0x3b9c, v75
	v_fmac_f16_e32 v48, 0x34f2, v44
	v_mul_f16_e32 v44, 0x34f2, v41
	v_fmac_f16_e32 v50, 0x38b4, v40
	v_pk_add_f16 v14, v14, v73
	v_fmac_f16_e32 v53, 0x34f2, v52
	v_fmac_f16_e32 v71, 0x34f2, v49
	v_fma_f16 v44, v48, 0x3b9c, -v44
	v_fmac_f16_e32 v50, 0x34f2, v49
	v_mul_f16_e32 v73, 0x3a79, v45
	v_mul_f16_e32 v45, 0xb8b4, v45
	;; [unrolled: 1-line block ×4, first 2 shown]
	v_pk_add_f16 v40, v14, v105
	v_add_f16_e32 v69, v15, v53
	v_sub_f16_e32 v14, v15, v53
	v_mul_f16_e32 v52, 0x3a79, v38
	v_mul_f16_e32 v53, 0x3a79, v50
	v_fmac_f16_e32 v45, 0x3a79, v71
	v_fmac_f16_e32 v49, 0x34f2, v75
	v_fma_f16 v41, v41, 0xbb9c, -v48
	v_fma_f16 v34, -0.5, v34, v16
	v_sub_f16_e32 v15, v55, v44
	v_add_f16_e32 v44, v55, v44
	v_fma_f16 v55, v50, 0x38b4, -v52
	v_fma_f16 v38, v38, 0xb8b4, -v53
	v_add_f16_e32 v53, v46, v45
	v_sub_f16_e32 v48, v46, v45
	v_add_f16_e32 v45, v39, v49
	v_sub_f16_e32 v50, v39, v49
	;; [unrolled: 2-line block ×3, first 2 shown]
	v_fmamk_f16 v17, v26, 0x3b9c, v34
	v_fmac_f16_e32 v34, 0xbb9c, v26
	v_fma_f16 v33, -0.5, v33, v16
	v_add_f16_e32 v24, v24, v32
	v_lshrrev_b32_e32 v16, 16, v16
	v_fmac_f16_e32 v17, 0x38b4, v29
	v_fmac_f16_e32 v34, 0xb8b4, v29
	v_fmamk_f16 v32, v29, 0xbb9c, v33
	v_fmac_f16_e32 v33, 0x3b9c, v29
	v_add_f16_e32 v25, v25, v28
	v_fmac_f16_e32 v17, 0x34f2, v24
	v_fmac_f16_e32 v34, 0x34f2, v24
	v_fma_f16 v24, -0.5, v30, v16
	v_fmac_f16_e32 v16, -0.5, v37
	v_fmac_f16_e32 v32, 0x38b4, v26
	v_fmac_f16_e32 v33, 0xb8b4, v26
	v_fma_f16 v20, -0.5, v20, v19
	v_fmamk_f16 v26, v35, 0xbb9c, v24
	v_fmac_f16_e32 v24, 0x3b9c, v35
	v_fmamk_f16 v29, v27, 0x3b9c, v16
	v_fmac_f16_e32 v16, 0xbb9c, v27
	v_add_f16_e32 v28, v31, v57
	v_fmac_f16_e32 v26, 0xb8b4, v27
	v_fmac_f16_e32 v24, 0x38b4, v27
	v_add_f16_e32 v27, v36, v56
	v_fmac_f16_e32 v29, 0xb8b4, v35
	v_fmac_f16_e32 v16, 0x38b4, v35
	;; [unrolled: 1-line block ×4, first 2 shown]
	v_fmamk_f16 v25, v65, 0x3b9c, v20
	v_fmac_f16_e32 v20, 0xbb9c, v65
	v_fmac_f16_e32 v26, 0x34f2, v28
	;; [unrolled: 1-line block ×5, first 2 shown]
	v_fma_f16 v27, -0.5, v89, v19
	v_add_f16_e32 v28, v63, v92
	v_fmac_f16_e32 v25, 0x38b4, v62
	v_fmac_f16_e32 v20, 0xb8b4, v62
	v_lshrrev_b32_e32 v19, 16, v19
	v_fmamk_f16 v30, v62, 0xbb9c, v27
	v_fmac_f16_e32 v27, 0x3b9c, v62
	v_fmac_f16_e32 v25, 0x34f2, v28
	;; [unrolled: 1-line block ×3, first 2 shown]
	v_fma_f16 v28, -0.5, v61, v19
	v_fmac_f16_e32 v19, -0.5, v66
	v_add_f16_e32 v46, v51, v38
	v_sub_f16_e32 v51, v51, v38
	v_add_f16_e32 v38, v58, v96
	v_fmamk_f16 v37, v64, 0xbb9c, v28
	v_fmamk_f16 v36, v22, 0x3b9c, v19
	v_fmac_f16_e32 v19, 0xbb9c, v22
	v_add_f16_e32 v31, v59, v93
	v_fmac_f16_e32 v27, 0xb8b4, v65
	v_fmac_f16_e32 v28, 0x3b9c, v64
	v_fmac_f16_e32 v36, 0xb8b4, v64
	v_fmac_f16_e32 v30, 0x38b4, v65
	v_add_f16_e32 v35, v60, v94
	v_fmac_f16_e32 v37, 0xb8b4, v22
	v_fmac_f16_e32 v19, 0x38b4, v64
	;; [unrolled: 1-line block ×7, first 2 shown]
	v_mul_f16_e32 v22, 0x3a79, v25
	v_mul_f16_e32 v25, 0xb8b4, v25
	;; [unrolled: 1-line block ×3, first 2 shown]
	v_fmac_f16_e32 v19, 0x34f2, v38
	v_fmac_f16_e32 v28, 0x34f2, v35
	v_mul_f16_e32 v35, 0x34f2, v27
	v_mul_f16_e32 v38, 0x3a79, v20
	v_fmac_f16_e32 v22, 0x38b4, v37
	v_fmac_f16_e32 v25, 0x3a79, v37
	;; [unrolled: 1-line block ×3, first 2 shown]
	v_mul_f16_e32 v30, 0xbb9c, v30
	v_mul_f16_e32 v37, 0x34f2, v19
	v_mul_f16_e32 v41, 0x3a79, v28
	v_fma_f16 v19, v19, 0x3b9c, -v35
	v_fma_f16 v28, v28, 0x38b4, -v38
	v_fmac_f16_e32 v30, 0x34f2, v36
	v_fma_f16 v27, v27, 0xbb9c, -v37
	v_fma_f16 v35, v20, 0xb8b4, -v41
	v_add_f16_e32 v36, v17, v22
	v_sub_f16_e32 v17, v17, v22
	v_add_f16_e32 v22, v32, v31
	v_sub_f16_e32 v31, v32, v31
	;; [unrolled: 2-line block ×5, first 2 shown]
	v_sub_f16_e32 v20, v115, v78
	v_sub_f16_e32 v38, v111, v98
	;; [unrolled: 1-line block ×4, first 2 shown]
	v_add_f16_e32 v26, v29, v30
	v_sub_f16_e32 v29, v29, v30
	v_add_f16_e32 v30, v16, v27
	v_sub_f16_e32 v16, v16, v27
	v_sub_f16_e32 v27, v95, v68
	;; [unrolled: 1-line block ×5, first 2 shown]
	v_fmac_f16_e32 v73, 0x38b4, v71
	v_mul_i32_i24_e32 v59, 10, v5
	v_pack_b32_f16 v38, v19, v38
	v_pack_b32_f16 v58, v20, v52
	;; [unrolled: 1-line block ×3, first 2 shown]
	v_add_f16_e32 v36, v24, v35
	v_sub_f16_e32 v24, v24, v35
	v_pack_b32_f16 v41, v41, v18
	v_pack_b32_f16 v27, v27, v56
	v_add_f16_e32 v57, v43, v73
	v_add_f16_e32 v52, v54, v55
	v_sub_f16_e32 v19, v43, v73
	v_sub_f16_e32 v20, v54, v55
	v_lshl_add_u32 v43, v59, 2, v0
	v_pk_add_f16 v54, v23, v70
	ds_write2_b32 v80, v85, v79 offset1:1
	ds_write2_b32 v80, v38, v58 offset0:6 offset1:7
	ds_write2_b32 v80, v27, v41 offset0:8 offset1:9
	ds_write2_b32 v43, v54, v34 offset1:1
	v_pack_b32_f16 v27, v32, v30
	v_pack_b32_f16 v22, v22, v26
	;; [unrolled: 1-line block ×3, first 2 shown]
	v_mul_i32_i24_e32 v28, 10, v13
	v_pk_add_f16 v23, v23, v70 neg_lo:[0,1] neg_hi:[0,1]
	v_pack_b32_f16 v26, v37, v36
	v_pack_b32_f16 v17, v17, v25
	;; [unrolled: 1-line block ×4, first 2 shown]
	v_pk_add_f16 v18, v21, v40 neg_lo:[0,1] neg_hi:[0,1]
	ds_write2_b32 v43, v22, v27 offset0:2 offset1:3
	ds_write2_b32 v43, v26, v23 offset0:4 offset1:5
	;; [unrolled: 1-line block ×4, first 2 shown]
	v_lshl_add_u32 v16, v28, 2, v0
	v_pk_add_f16 v17, v21, v40
	v_pack_b32_f16 v21, v57, v53
	v_pack_b32_f16 v22, v44, v39
	;; [unrolled: 1-line block ×8, first 2 shown]
	ds_write2_b32 v16, v17, v21 offset1:1
	ds_write2_b32 v16, v23, v22 offset0:2 offset1:3
	ds_write2_b32 v16, v24, v18 offset0:4 offset1:5
	;; [unrolled: 1-line block ×4, first 2 shown]
	s_waitcnt lgkmcnt(0)
	s_barrier
	buffer_gl0_inv
	ds_read2_b32 v[28:29], v6 offset0:60 offset1:76
	ds_read2_b32 v[22:23], v6 offset0:92 offset1:120
	;; [unrolled: 1-line block ×6, first 2 shown]
	ds_read_b32 v58, v42
	ds_read_u16 v60, v6 offset:1682
	ds_read2_b32 v[34:35], v12 offset0:164 offset1:180
	v_lshl_add_u32 v43, v13, 2, v0
	v_lshl_add_u32 v44, v5, 2, v0
	ds_read2_b32 v[40:41], v6 offset0:136 offset1:152
	ds_read2_b32 v[38:39], v12 offset1:16
	ds_read2_b32 v[36:37], v12 offset0:120 offset1:136
	ds_read_b32 v56, v43
	ds_read_b32 v57, v44
	ds_read_b32 v59, v6 offset:1808
	v_lshlrev_b32_e32 v45, 2, v9
                                        ; implicit-def: $vgpr54
                                        ; implicit-def: $vgpr55
                                        ; implicit-def: $vgpr53
	s_and_saveexec_b32 s1, s0
	s_cbranch_execz .LBB0_15
; %bb.14:
	v_add3_u32 v16, 0, v45, v10
	ds_read2_b32 v[18:19], v6 offset0:108 offset1:168
	ds_read2_b32 v[14:15], v47 offset0:100 offset1:160
	;; [unrolled: 1-line block ×3, first 2 shown]
	ds_read_b32 v52, v16
	ds_read_b32 v53, v6 offset:1872
	s_waitcnt lgkmcnt(4)
	v_lshrrev_b32_e32 v48, 16, v19
	s_waitcnt lgkmcnt(3)
	v_lshrrev_b32_e32 v50, 16, v14
	v_lshrrev_b32_e32 v49, 16, v15
	s_waitcnt lgkmcnt(2)
	v_lshrrev_b32_e32 v51, 16, v20
	;; [unrolled: 3-line block ×3, first 2 shown]
	s_waitcnt lgkmcnt(0)
	v_lshrrev_b32_e32 v55, 16, v53
.LBB0_15:
	s_or_b32 exec_lo, exec_lo, s1
	v_add_nc_u32_e32 v12, -10, v11
	v_cmp_gt_u32_e64 s1, 10, v11
	v_mov_b32_e32 v17, 0
	v_mov_b32_e32 v84, 2
	s_waitcnt lgkmcnt(14)
	v_lshrrev_b32_e32 v104, 16, v28
	s_waitcnt lgkmcnt(13)
	v_lshrrev_b32_e32 v105, 16, v23
	v_cndmask_b32_e64 v47, v12, v11, s1
	v_and_b32_e32 v12, 0xff, v5
	s_waitcnt lgkmcnt(12)
	v_lshrrev_b32_e32 v106, 16, v30
	s_waitcnt lgkmcnt(10)
	v_lshrrev_b32_e32 v107, 16, v32
	;; [unrolled: 2-line block ×3, first 2 shown]
	v_mul_i32_i24_e32 v16, 7, v47
	v_mul_lo_u16 v12, 0xcd, v12
	v_lshrrev_b32_e32 v90, 16, v31
	s_waitcnt lgkmcnt(4)
	v_lshrrev_b32_e32 v91, 16, v38
	v_lshrrev_b32_e32 v92, 16, v33
	v_lshlrev_b64 v[61:62], 2, v[16:17]
	v_lshrrev_b16 v82, 11, v12
	v_and_b32_e32 v12, 0xff, v13
	s_waitcnt lgkmcnt(3)
	v_lshrrev_b32_e32 v93, 16, v36
	v_lshrrev_b32_e32 v94, 16, v35
	;; [unrolled: 1-line block ×3, first 2 shown]
	v_mul_lo_u16 v16, v82, 10
	v_mul_lo_u16 v12, 0xcd, v12
	v_add_co_u32 v65, s1, s12, v61
	v_add_co_ci_u32_e64 v66, s1, s13, v62, s1
	v_sub_nc_u16 v83, v5, v16
	v_lshrrev_b16 v85, 11, v12
	v_cmp_lt_u32_e64 s1, 9, v11
	s_clause 0x1
	global_load_dwordx4 v[61:64], v[65:66], off
	global_load_dwordx3 v[73:75], v[65:66], off offset:16
	v_mul_lo_u16 v12, v83, 7
	v_mul_lo_u16 v16, v85, 10
	v_cndmask_b32_e64 v103, 0, 0x50, s1
	v_mul_lo_u16 v82, 0x50, v82
	v_lshrrev_b32_e32 v97, 16, v41
	v_lshlrev_b32_sdwa v69, v84, v12 dst_sel:DWORD dst_unused:UNUSED_PAD src0_sel:DWORD src1_sel:BYTE_0
	v_mov_b32_e32 v12, 7
	v_sub_nc_u16 v86, v13, v16
	v_or_b32_e32 v47, v103, v47
	v_lshrrev_b32_e32 v103, 16, v25
	s_clause 0x1
	global_load_dwordx4 v[65:68], v69, s[12:13]
	global_load_dwordx3 v[76:78], v69, s[12:13] offset:16
	v_mul_u32_u24_sdwa v16, v86, v12 dst_sel:DWORD dst_unused:UNUSED_PAD src0_sel:BYTE_0 src1_sel:DWORD
	v_or_b32_e32 v82, v82, v83
	v_lshrrev_b32_e32 v98, 16, v24
	v_lshrrev_b32_e32 v99, 16, v39
	;; [unrolled: 1-line block ×3, first 2 shown]
	v_lshlrev_b32_e32 v16, 2, v16
	s_clause 0x1
	global_load_dwordx4 v[69:72], v16, s[12:13]
	global_load_dwordx3 v[79:81], v16, s[12:13] offset:16
	v_mov_b32_e32 v16, 0x50
	v_lshlrev_b32_sdwa v82, v84, v82 dst_sel:DWORD dst_unused:UNUSED_PAD src0_sel:DWORD src1_sel:BYTE_0
	v_lshrrev_b32_e32 v101, 16, v37
	s_waitcnt lgkmcnt(0)
	v_lshrrev_b32_e32 v102, 16, v59
	v_lshrrev_b32_e32 v87, 16, v58
	v_mul_u32_u24_sdwa v85, v85, v16 dst_sel:DWORD dst_unused:UNUSED_PAD src0_sel:WORD_0 src1_sel:DWORD
	v_lshrrev_b32_e32 v88, 16, v57
	v_lshrrev_b32_e32 v95, 16, v56
	v_lshlrev_b32_e32 v47, 2, v47
	s_waitcnt vmcnt(0)
	v_or_b32_sdwa v83, v85, v86 dst_sel:DWORD dst_unused:UNUSED_PAD src0_sel:DWORD src1_sel:BYTE_0
	v_lshrrev_b32_e32 v85, 16, v27
	v_lshrrev_b32_e32 v86, 16, v29
	v_add3_u32 v47, 0, v47, v10
	s_barrier
	buffer_gl0_inv
	v_lshlrev_b32_e32 v83, 2, v83
	v_add3_u32 v82, 0, v82, v10
	v_add3_u32 v83, 0, v83, v10
	v_mul_f16_sdwa v84, v61, v104 dst_sel:DWORD dst_unused:UNUSED_PAD src0_sel:WORD_1 src1_sel:DWORD
	v_mul_f16_sdwa v108, v61, v28 dst_sel:DWORD dst_unused:UNUSED_PAD src0_sel:WORD_1 src1_sel:DWORD
	;; [unrolled: 1-line block ×12, first 2 shown]
	v_mul_f16_sdwa v119, v60, v75 dst_sel:DWORD dst_unused:UNUSED_PAD src0_sel:DWORD src1_sel:WORD_1
	v_mul_f16_sdwa v120, v75, v34 dst_sel:DWORD dst_unused:UNUSED_PAD src0_sel:WORD_1 src1_sel:DWORD
	v_fma_f16 v28, v61, v28, -v84
	v_fmac_f16_e32 v108, v61, v104
	v_fma_f16 v23, v62, v23, -v109
	v_fmac_f16_e32 v110, v62, v105
	;; [unrolled: 2-line block ×7, first 2 shown]
	v_mul_f16_sdwa v60, v65, v86 dst_sel:DWORD dst_unused:UNUSED_PAD src0_sel:WORD_1 src1_sel:DWORD
	v_mul_f16_sdwa v61, v65, v29 dst_sel:DWORD dst_unused:UNUSED_PAD src0_sel:WORD_1 src1_sel:DWORD
	v_mul_f16_sdwa v62, v89, v66 dst_sel:DWORD dst_unused:UNUSED_PAD src0_sel:DWORD src1_sel:WORD_1
	v_mul_f16_sdwa v63, v40, v66 dst_sel:DWORD dst_unused:UNUSED_PAD src0_sel:DWORD src1_sel:WORD_1
	;; [unrolled: 1-line block ×26, first 2 shown]
	v_sub_f16_e32 v25, v58, v25
	v_sub_f16_e32 v114, v87, v114
	;; [unrolled: 1-line block ×8, first 2 shown]
	v_fma_f16 v29, v65, v29, -v60
	v_fmac_f16_e32 v61, v65, v86
	v_fma_f16 v40, v40, v66, -v62
	v_fmac_f16_e32 v63, v89, v66
	;; [unrolled: 2-line block ×14, first 2 shown]
	v_fma_f16 v58, v58, 2.0, -v25
	v_fma_f16 v60, v87, 2.0, -v114
	;; [unrolled: 1-line block ×8, first 2 shown]
	v_sub_f16_e32 v66, v25, v118
	v_add_f16_e32 v27, v114, v27
	v_sub_f16_e32 v67, v32, v120
	v_add_f16_e32 v34, v116, v34
	v_sub_f16_e32 v38, v57, v38
	v_sub_f16_e32 v68, v88, v75
	;; [unrolled: 1-line block ×18, first 2 shown]
	v_fma_f16 v25, v25, 2.0, -v66
	v_fma_f16 v77, v114, 2.0, -v27
	v_sub_f16_e32 v30, v28, v30
	v_sub_f16_e32 v65, v64, v65
	v_fma_f16 v32, v32, 2.0, -v67
	v_fma_f16 v78, v116, 2.0, -v34
	v_fmamk_f16 v79, v67, 0x39a8, v66
	v_fmamk_f16 v80, v34, 0x39a8, v27
	v_fma_f16 v57, v57, 2.0, -v38
	v_fma_f16 v81, v88, 2.0, -v68
	;; [unrolled: 1-line block ×8, first 2 shown]
	v_sub_f16_e32 v69, v38, v69
	v_add_f16_e32 v36, v68, v36
	v_sub_f16_e32 v71, v33, v71
	v_add_f16_e32 v35, v70, v35
	v_fma_f16 v56, v56, 2.0, -v39
	v_fma_f16 v84, v95, 2.0, -v72
	v_fma_f16 v41, v41, 2.0, -v37
	v_fma_f16 v85, v113, 2.0, -v74
	v_fma_f16 v22, v22, 2.0, -v26
	v_fma_f16 v86, v109, 2.0, -v75
	v_fma_f16 v24, v24, 2.0, -v59
	v_fma_f16 v87, v117, 2.0, -v76
	v_sub_f16_e32 v74, v39, v74
	v_add_f16_e32 v37, v72, v37
	v_sub_f16_e32 v76, v26, v76
	v_add_f16_e32 v59, v75, v59
	v_fma_f16 v58, v58, 2.0, -v23
	v_fma_f16 v60, v60, 2.0, -v62
	;; [unrolled: 1-line block ×4, first 2 shown]
	v_fmamk_f16 v88, v32, 0xb9a8, v25
	v_fmamk_f16 v89, v78, 0xb9a8, v77
	v_sub_f16_e32 v65, v23, v65
	v_add_f16_e32 v30, v62, v30
	v_fmac_f16_e32 v79, 0xb9a8, v34
	v_fmac_f16_e32 v80, 0x39a8, v67
	v_sub_f16_e32 v34, v57, v40
	v_sub_f16_e32 v40, v81, v63
	v_fma_f16 v38, v38, 2.0, -v69
	v_fma_f16 v63, v68, 2.0, -v36
	v_sub_f16_e32 v31, v29, v31
	v_sub_f16_e32 v67, v61, v73
	v_fma_f16 v33, v33, 2.0, -v71
	v_fma_f16 v68, v70, 2.0, -v35
	v_fmamk_f16 v70, v71, 0x39a8, v69
	v_fmamk_f16 v73, v35, 0x39a8, v36
	v_sub_f16_e32 v41, v56, v41
	v_sub_f16_e32 v85, v84, v85
	v_fma_f16 v39, v39, 2.0, -v74
	v_fma_f16 v72, v72, 2.0, -v37
	v_sub_f16_e32 v24, v22, v24
	v_sub_f16_e32 v87, v86, v87
	v_fma_f16 v26, v26, 2.0, -v76
	v_fma_f16 v75, v75, 2.0, -v59
	v_fmamk_f16 v90, v76, 0x39a8, v74
	v_sub_f16_e32 v28, v58, v28
	v_sub_f16_e32 v64, v60, v64
	v_fmac_f16_e32 v88, 0xb9a8, v78
	v_fmac_f16_e32 v89, 0x39a8, v32
	v_fma_f16 v23, v23, 2.0, -v65
	v_fma_f16 v32, v62, 2.0, -v30
	v_fma_f16 v62, v66, 2.0, -v79
	v_fma_f16 v27, v27, 2.0, -v80
	v_pack_b32_f16 v30, v65, v30
	v_pack_b32_f16 v65, v79, v80
	v_fma_f16 v57, v57, 2.0, -v34
	v_fma_f16 v66, v81, 2.0, -v40
	v_fma_f16 v29, v29, 2.0, -v31
	v_fma_f16 v61, v61, 2.0, -v67
	v_fmamk_f16 v78, v33, 0xb9a8, v38
	v_fmamk_f16 v79, v68, 0xb9a8, v63
	v_fmac_f16_e32 v70, 0xb9a8, v35
	v_fmac_f16_e32 v73, 0x39a8, v71
	v_fma_f16 v35, v56, 2.0, -v41
	v_fma_f16 v56, v84, 2.0, -v85
	;; [unrolled: 1-line block ×4, first 2 shown]
	v_fmamk_f16 v80, v26, 0xb9a8, v39
	v_fmamk_f16 v81, v75, 0xb9a8, v72
	;; [unrolled: 1-line block ×3, first 2 shown]
	v_sub_f16_e32 v67, v34, v67
	v_add_f16_e32 v31, v40, v31
	v_fmac_f16_e32 v90, 0xb9a8, v59
	v_fma_f16 v58, v58, 2.0, -v28
	v_fma_f16 v59, v60, 2.0, -v64
	;; [unrolled: 1-line block ×4, first 2 shown]
	v_pack_b32_f16 v23, v23, v32
	v_pack_b32_f16 v27, v62, v27
	ds_write2_b32 v47, v30, v65 offset0:60 offset1:70
	v_sub_f16_e32 v29, v57, v29
	v_sub_f16_e32 v30, v66, v61
	v_fmac_f16_e32 v78, 0xb9a8, v68
	v_fmac_f16_e32 v79, 0x39a8, v33
	v_pack_b32_f16 v28, v28, v64
	v_pack_b32_f16 v32, v88, v89
	v_sub_f16_e32 v22, v35, v22
	v_sub_f16_e32 v61, v56, v71
	v_fmac_f16_e32 v80, 0xb9a8, v75
	v_fmac_f16_e32 v81, 0x39a8, v26
	v_sub_f16_e32 v84, v41, v87
	v_add_f16_e32 v24, v85, v24
	v_fmac_f16_e32 v91, 0x39a8, v76
	v_fma_f16 v33, v34, 2.0, -v67
	v_fma_f16 v34, v40, 2.0, -v31
	;; [unrolled: 1-line block ×4, first 2 shown]
	v_pack_b32_f16 v58, v58, v59
	v_pack_b32_f16 v25, v25, v60
	ds_write2_b32 v47, v23, v27 offset0:20 offset1:30
	ds_write2_b32 v47, v28, v32 offset0:40 offset1:50
	v_fma_f16 v23, v57, 2.0, -v29
	v_fma_f16 v27, v66, 2.0, -v30
	;; [unrolled: 1-line block ×12, first 2 shown]
	v_pack_b32_f16 v31, v67, v31
	v_pack_b32_f16 v64, v70, v73
	;; [unrolled: 1-line block ×6, first 2 shown]
	ds_write2_b32 v47, v58, v25 offset1:10
	v_pack_b32_f16 v23, v23, v27
	v_pack_b32_f16 v25, v28, v32
	;; [unrolled: 1-line block ×10, first 2 shown]
	ds_write2_b32 v82, v31, v64 offset0:60 offset1:70
	ds_write2_b32 v82, v33, v34 offset0:20 offset1:30
	ds_write2_b32 v82, v29, v30 offset0:40 offset1:50
	ds_write2_b32 v82, v23, v25 offset1:10
	ds_write2_b32 v83, v27, v28 offset1:10
	ds_write2_b32 v83, v26, v36 offset0:20 offset1:30
	ds_write2_b32 v83, v22, v37 offset0:40 offset1:50
	;; [unrolled: 1-line block ×3, first 2 shown]
	s_and_saveexec_b32 s1, s0
	s_cbranch_execz .LBB0_17
; %bb.16:
	v_and_b32_e32 v22, 0xff, v9
	v_mul_lo_u16 v22, 0xcd, v22
	v_lshrrev_b16 v29, 11, v22
	v_mul_lo_u16 v22, v29, 10
	v_sub_nc_u16 v30, v9, v22
	v_mul_u32_u24_sdwa v12, v30, v12 dst_sel:DWORD dst_unused:UNUSED_PAD src0_sel:BYTE_0 src1_sel:DWORD
	v_lshlrev_b32_e32 v12, 2, v12
	s_clause 0x1
	global_load_dwordx4 v[22:25], v12, s[12:13]
	global_load_dwordx3 v[26:28], v12, s[12:13] offset:16
	v_mul_u32_u24_sdwa v12, v29, v16 dst_sel:DWORD dst_unused:UNUSED_PAD src0_sel:WORD_0 src1_sel:DWORD
	v_lshrrev_b32_e32 v16, 16, v18
	v_or_b32_sdwa v12, v12, v30 dst_sel:DWORD dst_unused:UNUSED_PAD src0_sel:DWORD src1_sel:BYTE_0
	v_lshlrev_b32_e32 v12, 2, v12
	v_add3_u32 v12, 0, v12, v10
	s_waitcnt vmcnt(1)
	v_mul_f16_sdwa v29, v49, v25 dst_sel:DWORD dst_unused:UNUSED_PAD src0_sel:DWORD src1_sel:WORD_1
	v_mul_f16_sdwa v30, v19, v23 dst_sel:DWORD dst_unused:UNUSED_PAD src0_sel:DWORD src1_sel:WORD_1
	s_waitcnt vmcnt(0)
	v_mul_f16_sdwa v31, v21, v27 dst_sel:DWORD dst_unused:UNUSED_PAD src0_sel:DWORD src1_sel:WORD_1
	v_mul_f16_sdwa v32, v16, v22 dst_sel:DWORD dst_unused:UNUSED_PAD src0_sel:DWORD src1_sel:WORD_1
	;; [unrolled: 1-line block ×12, first 2 shown]
	v_fma_f16 v15, v15, v25, -v29
	v_fmac_f16_e32 v30, v48, v23
	v_fmac_f16_e32 v31, v54, v27
	v_fma_f16 v18, v18, v22, -v32
	v_fma_f16 v20, v20, v26, -v33
	v_fmac_f16_e32 v34, v50, v24
	v_fmac_f16_e32 v35, v55, v28
	;; [unrolled: 1-line block ×4, first 2 shown]
	v_fma_f16 v14, v14, v24, -v38
	v_fma_f16 v16, v53, v28, -v39
	v_fmac_f16_e32 v40, v49, v25
	v_fma_f16 v19, v19, v23, -v41
	v_fma_f16 v21, v21, v27, -v47
	v_sub_f16_e32 v15, v52, v15
	v_sub_f16_e32 v22, v30, v31
	;; [unrolled: 1-line block ×10, first 2 shown]
	v_add_f16_e32 v28, v24, v16
	v_fma_f16 v31, v52, 2.0, -v15
	v_add_f16_e32 v29, v25, v21
	v_fma_f16 v19, v19, 2.0, -v21
	v_fma_f16 v21, v36, 2.0, -v24
	;; [unrolled: 1-line block ×7, first 2 shown]
	v_fmamk_f16 v16, v27, 0x39a8, v26
	v_sub_f16_e32 v19, v31, v19
	v_sub_f16_e32 v23, v21, v23
	;; [unrolled: 1-line block ×4, first 2 shown]
	v_fma_f16 v15, v15, 2.0, -v26
	v_fma_f16 v20, v20, 2.0, -v27
	;; [unrolled: 1-line block ×4, first 2 shown]
	v_fmamk_f16 v30, v28, 0x39a8, v29
	v_fmac_f16_e32 v16, 0xb9a8, v28
	v_add_f16_e32 v28, v22, v14
	v_fmamk_f16 v33, v20, 0xb9a8, v15
	v_fmamk_f16 v34, v24, 0xb9a8, v25
	v_fma_f16 v31, v31, 2.0, -v19
	v_fma_f16 v14, v18, 2.0, -v14
	;; [unrolled: 1-line block ×4, first 2 shown]
	v_fmac_f16_e32 v30, 0x39a8, v27
	v_sub_f16_e32 v27, v19, v23
	v_fmac_f16_e32 v33, 0xb9a8, v24
	v_fmac_f16_e32 v34, 0x39a8, v20
	v_sub_f16_e32 v14, v31, v14
	v_sub_f16_e32 v20, v18, v21
	v_fma_f16 v23, v26, 2.0, -v16
	v_fma_f16 v26, v29, 2.0, -v30
	v_fma_f16 v19, v19, 2.0, -v27
	v_fma_f16 v21, v22, 2.0, -v28
	v_fma_f16 v15, v15, 2.0, -v33
	v_fma_f16 v24, v25, 2.0, -v34
	v_fma_f16 v25, v31, 2.0, -v14
	v_fma_f16 v18, v18, 2.0, -v20
	v_pack_b32_f16 v19, v19, v21
	v_pack_b32_f16 v21, v23, v26
	;; [unrolled: 1-line block ×8, first 2 shown]
	ds_write2_b32 v12, v19, v21 offset0:20 offset1:30
	ds_write2_b32 v12, v14, v20 offset0:40 offset1:50
	ds_write2_b32 v12, v18, v15 offset1:10
	ds_write2_b32 v12, v22, v16 offset0:60 offset1:70
.LBB0_17:
	s_or_b32 exec_lo, exec_lo, s1
	v_mul_u32_u24_e32 v12, 5, v11
	v_or_b32_e32 v14, 64, v11
	v_mul_i32_i24_e32 v16, 5, v5
	s_waitcnt lgkmcnt(0)
	s_barrier
	v_lshlrev_b32_e32 v12, 2, v12
	buffer_gl0_inv
	v_add3_u32 v10, 0, v45, v10
	v_sub_nc_u32_e32 v2, v0, v2
	s_mov_b32 s1, exec_lo
	s_clause 0x1
	global_load_dwordx4 v[28:31], v12, s[12:13] offset:280
	global_load_dword v19, v12, s[12:13] offset:296
	v_mul_u32_u24_e32 v12, 5, v14
	v_lshlrev_b64 v[14:15], 2, v[16:17]
	v_mul_i32_i24_e32 v16, 5, v13
	v_lshlrev_b32_e32 v12, 2, v12
	v_add_co_u32 v14, s0, s12, v14
	v_add_co_ci_u32_e64 v15, s0, s13, v15, s0
	s_clause 0x3
	global_load_dwordx4 v[32:35], v12, s[12:13] offset:280
	global_load_dword v76, v12, s[12:13] offset:296
	global_load_dwordx4 v[36:39], v[14:15], off offset:280
	global_load_dword v77, v[14:15], off offset:296
	v_lshlrev_b64 v[14:15], 2, v[16:17]
	v_mul_i32_i24_e32 v16, 5, v9
	v_add_nc_u32_e32 v12, 0x400, v6
	v_add_co_u32 v14, s0, s12, v14
	v_add_co_ci_u32_e64 v15, s0, s13, v15, s0
	s_clause 0x1
	global_load_dwordx4 v[46:49], v[14:15], off offset:280
	global_load_dword v78, v[14:15], off offset:296
	v_lshlrev_b64 v[14:15], 2, v[16:17]
	v_add_co_u32 v14, s0, s12, v14
	v_add_co_ci_u32_e64 v15, s0, s13, v15, s0
	s_clause 0x1
	global_load_dwordx4 v[50:53], v[14:15], off offset:280
	global_load_dword v79, v[14:15], off offset:296
	ds_read_b32 v27, v42
	ds_read2_b32 v[14:15], v6 offset0:64 offset1:80
	ds_read2_b32 v[40:41], v6 offset0:160 offset1:176
	;; [unrolled: 1-line block ×3, first 2 shown]
	ds_read_b32 v21, v44
	ds_read2_b32 v[56:57], v6 offset0:96 offset1:112
	ds_read_b32 v18, v43
	ds_read2_b32 v[58:59], v6 offset0:192 offset1:208
	ds_read2_b32 v[60:61], v6 offset0:128 offset1:144
	;; [unrolled: 1-line block ×4, first 2 shown]
	ds_read2_b32 v[66:67], v12 offset1:16
	ds_read2_b32 v[68:69], v12 offset0:160 offset1:176
	ds_read2_b32 v[70:71], v12 offset0:96 offset1:112
	ds_read_b32 v17, v10
	ds_read2_b32 v[72:73], v12 offset0:32 offset1:48
	ds_read2_b32 v[74:75], v12 offset0:192 offset1:208
	s_waitcnt vmcnt(0) lgkmcnt(0)
	s_barrier
	buffer_gl0_inv
	v_lshrrev_b32_e32 v88, 16, v62
	v_lshrrev_b32_e32 v20, 16, v15
	;; [unrolled: 1-line block ×30, first 2 shown]
	v_mul_f16_sdwa v102, v20, v28 dst_sel:DWORD dst_unused:UNUSED_PAD src0_sel:DWORD src1_sel:WORD_1
	v_mul_f16_sdwa v103, v15, v28 dst_sel:DWORD dst_unused:UNUSED_PAD src0_sel:DWORD src1_sel:WORD_1
	;; [unrolled: 1-line block ×10, first 2 shown]
	v_fma_f16 v102, v15, v28, -v102
	v_fmac_f16_e32 v103, v20, v28
	v_fma_f16 v40, v40, v29, -v104
	v_fmac_f16_e32 v105, v24, v29
	;; [unrolled: 2-line block ×5, first 2 shown]
	v_mul_f16_sdwa v19, v86, v32 dst_sel:DWORD dst_unused:UNUSED_PAD src0_sel:DWORD src1_sel:WORD_1
	v_mul_f16_sdwa v15, v61, v32 dst_sel:DWORD dst_unused:UNUSED_PAD src0_sel:DWORD src1_sel:WORD_1
	;; [unrolled: 1-line block ×20, first 2 shown]
	v_fma_f16 v19, v61, v32, -v19
	v_fmac_f16_e32 v15, v86, v32
	v_fma_f16 v32, v54, v33, -v28
	v_fmac_f16_e32 v30, v87, v33
	;; [unrolled: 2-line block ×5, first 2 shown]
	v_add_f16_e32 v34, v27, v40
	v_add_f16_e32 v35, v40, v62
	v_add_f16_e32 v61, v45, v105
	v_add_f16_e32 v64, v105, v109
	v_add_f16_e32 v65, v102, v55
	v_add_f16_e32 v73, v55, v31
	v_add_f16_e32 v76, v103, v107
	v_add_f16_e32 v86, v107, v111
	v_fma_f16 v56, v56, v36, -v89
	v_fmac_f16_e32 v104, v80, v36
	v_fma_f16 v36, v41, v37, -v106
	v_fmac_f16_e32 v108, v81, v37
	;; [unrolled: 2-line block ×5, first 2 shown]
	v_mul_f16_sdwa v41, v82, v46 dst_sel:DWORD dst_unused:UNUSED_PAD src0_sel:DWORD src1_sel:WORD_1
	v_mul_f16_sdwa v63, v57, v46 dst_sel:DWORD dst_unused:UNUSED_PAD src0_sel:DWORD src1_sel:WORD_1
	v_mul_f16_sdwa v66, v83, v47 dst_sel:DWORD dst_unused:UNUSED_PAD src0_sel:DWORD src1_sel:WORD_1
	v_mul_f16_sdwa v68, v58, v47 dst_sel:DWORD dst_unused:UNUSED_PAD src0_sel:DWORD src1_sel:WORD_1
	v_mul_f16_sdwa v77, v93, v48 dst_sel:DWORD dst_unused:UNUSED_PAD src0_sel:DWORD src1_sel:WORD_1
	v_mul_f16_sdwa v80, v67, v48 dst_sel:DWORD dst_unused:UNUSED_PAD src0_sel:DWORD src1_sel:WORD_1
	v_mul_f16_sdwa v81, v94, v49 dst_sel:DWORD dst_unused:UNUSED_PAD src0_sel:DWORD src1_sel:WORD_1
	v_mul_f16_sdwa v87, v70, v49 dst_sel:DWORD dst_unused:UNUSED_PAD src0_sel:DWORD src1_sel:WORD_1
	v_mul_f16_sdwa v88, v95, v78 dst_sel:DWORD dst_unused:UNUSED_PAD src0_sel:DWORD src1_sel:WORD_1
	v_mul_f16_sdwa v89, v69, v78 dst_sel:DWORD dst_unused:UNUSED_PAD src0_sel:DWORD src1_sel:WORD_1
	v_sub_f16_e32 v54, v105, v109
	v_sub_f16_e32 v40, v40, v62
	;; [unrolled: 1-line block ×4, first 2 shown]
	v_add_f16_e32 v34, v34, v62
	v_fmac_f16_e32 v27, -0.5, v35
	v_add_f16_e32 v35, v61, v109
	v_fmac_f16_e32 v45, -0.5, v64
	;; [unrolled: 2-line block ×4, first 2 shown]
	v_add_f16_e32 v64, v32, v33
	v_fma_f16 v41, v57, v46, -v41
	v_fmac_f16_e32 v63, v82, v46
	v_fma_f16 v46, v58, v47, -v66
	v_fmac_f16_e32 v68, v83, v47
	;; [unrolled: 2-line block ×5, first 2 shown]
	v_mul_f16_sdwa v57, v84, v50 dst_sel:DWORD dst_unused:UNUSED_PAD src0_sel:DWORD src1_sel:WORD_1
	v_mul_f16_sdwa v58, v60, v50 dst_sel:DWORD dst_unused:UNUSED_PAD src0_sel:DWORD src1_sel:WORD_1
	;; [unrolled: 1-line block ×9, first 2 shown]
	v_add_f16_e32 v82, v21, v36
	v_add_f16_e32 v83, v36, v38
	;; [unrolled: 1-line block ×7, first 2 shown]
	v_mul_f16_sdwa v81, v74, v79 dst_sel:DWORD dst_unused:UNUSED_PAD src0_sel:DWORD src1_sel:WORD_1
	v_sub_f16_e32 v86, v108, v114
	v_add_f16_e32 v90, v108, v114
	v_sub_f16_e32 v36, v36, v38
	v_add_f16_e32 v92, v37, v39
	v_sub_f16_e32 v37, v37, v39
	v_fmamk_f16 v99, v54, 0x3aee, v27
	v_fmac_f16_e32 v27, 0xbaee, v54
	v_fmamk_f16 v54, v40, 0xbaee, v45
	v_fmac_f16_e32 v45, 0x3aee, v40
	;; [unrolled: 2-line block ×4, first 2 shown]
	v_add_f16_e32 v55, v34, v31
	v_add_f16_e32 v100, v35, v61
	v_sub_f16_e32 v31, v34, v31
	v_sub_f16_e32 v34, v35, v61
	v_fmac_f16_e32 v14, -0.5, v64
	v_fma_f16 v35, v60, v50, -v57
	v_fmac_f16_e32 v58, v84, v50
	v_fma_f16 v50, v59, v51, -v66
	v_fmac_f16_e32 v67, v85, v51
	v_fma_f16 v51, v72, v52, -v69
	v_fmac_f16_e32 v70, v96, v52
	v_fma_f16 v52, v71, v53, -v76
	v_fmac_f16_e32 v77, v97, v53
	v_fma_f16 v53, v74, v79, -v78
	v_add_f16_e32 v38, v82, v38
	v_fmac_f16_e32 v21, -0.5, v83
	v_add_f16_e32 v57, v88, v114
	v_add_f16_e32 v39, v91, v39
	;; [unrolled: 1-line block ×3, first 2 shown]
	v_fmac_f16_e32 v104, -0.5, v95
	v_add_f16_e32 v61, v46, v48
	v_sub_f16_e32 v64, v68, v87
	v_add_f16_e32 v66, v22, v68
	v_add_f16_e32 v68, v68, v87
	;; [unrolled: 1-line block ×4, first 2 shown]
	v_sub_f16_e32 v93, v112, v116
	v_fmac_f16_e32 v81, v98, v79
	v_fmac_f16_e32 v26, -0.5, v90
	v_fmac_f16_e32 v56, -0.5, v92
	v_add_f16_e32 v60, v18, v46
	v_sub_f16_e32 v46, v46, v48
	v_add_f16_e32 v69, v41, v47
	v_sub_f16_e32 v72, v80, v89
	;; [unrolled: 2-line block ×3, first 2 shown]
	v_mul_f16_e32 v78, 0x3aee, v75
	v_fmamk_f16 v83, v86, 0x3aee, v21
	v_fmac_f16_e32 v21, 0xbaee, v86
	v_fmamk_f16 v85, v37, 0xbaee, v104
	v_fmac_f16_e32 v104, 0x3aee, v37
	v_add_f16_e32 v37, v38, v39
	v_add_f16_e32 v86, v57, v59
	v_sub_f16_e32 v38, v38, v39
	v_sub_f16_e32 v39, v57, v59
	v_fmac_f16_e32 v18, -0.5, v61
	v_add_f16_e32 v57, v66, v87
	v_fmac_f16_e32 v22, -0.5, v68
	v_fmac_f16_e32 v41, -0.5, v71
	;; [unrolled: 1-line block ×3, first 2 shown]
	v_add_f16_e32 v61, v50, v52
	v_sub_f16_e32 v66, v67, v77
	v_add_f16_e32 v68, v23, v67
	v_add_f16_e32 v67, v67, v77
	;; [unrolled: 1-line block ×3, first 2 shown]
	v_mul_f16_e32 v80, 0xbaee, v40
	v_fmamk_f16 v84, v36, 0xbaee, v26
	v_fmac_f16_e32 v26, 0x3aee, v36
	v_fmamk_f16 v36, v93, 0x3aee, v56
	v_fmac_f16_e32 v56, 0xbaee, v93
	v_add_f16_e32 v48, v60, v48
	v_add_f16_e32 v49, v69, v49
	;; [unrolled: 1-line block ×4, first 2 shown]
	v_sub_f16_e32 v50, v50, v52
	v_add_f16_e32 v69, v35, v51
	v_sub_f16_e32 v74, v70, v81
	v_add_f16_e32 v76, v58, v70
	v_add_f16_e32 v70, v70, v81
	v_fmac_f16_e32 v78, 0.5, v40
	v_mul_f16_e32 v40, 0x3aee, v85
	v_mul_f16_e32 v88, -0.5, v104
	v_fmamk_f16 v89, v64, 0x3aee, v18
	v_fmac_f16_e32 v18, 0xbaee, v64
	v_fmamk_f16 v64, v46, 0xbaee, v22
	v_fmac_f16_e32 v22, 0x3aee, v46
	;; [unrolled: 2-line block ×3, first 2 shown]
	v_fmamk_f16 v72, v47, 0xbaee, v63
	v_fmac_f16_e32 v17, -0.5, v61
	v_fmac_f16_e32 v23, -0.5, v67
	;; [unrolled: 1-line block ×3, first 2 shown]
	v_sub_f16_e32 v51, v51, v53
	v_fmac_f16_e32 v80, 0.5, v75
	v_mul_f16_e32 v75, -0.5, v56
	v_mul_f16_e32 v87, 0xbaee, v36
	v_fmac_f16_e32 v63, 0x3aee, v47
	v_add_f16_e32 v47, v48, v49
	v_add_f16_e32 v90, v57, v59
	v_sub_f16_e32 v48, v48, v49
	v_sub_f16_e32 v49, v57, v59
	v_add_f16_e32 v59, v76, v81
	v_fmac_f16_e32 v58, -0.5, v70
	v_fmac_f16_e32 v40, 0.5, v36
	v_fmac_f16_e32 v88, 0xbaee, v56
	v_mul_f16_e32 v36, 0x3aee, v72
	v_mul_f16_e32 v56, -0.5, v41
	v_fmamk_f16 v76, v66, 0x3aee, v17
	v_fmac_f16_e32 v17, 0xbaee, v66
	v_fmamk_f16 v66, v50, 0xbaee, v23
	v_fmac_f16_e32 v23, 0x3aee, v50
	;; [unrolled: 2-line block ×3, first 2 shown]
	v_mul_f16_e32 v70, 0xbaee, v46
	v_mul_f16_e32 v71, -0.5, v63
	v_fmamk_f16 v74, v51, 0xbaee, v58
	v_fmac_f16_e32 v58, 0x3aee, v51
	v_fmac_f16_e32 v36, 0.5, v46
	v_fmac_f16_e32 v56, 0x3aee, v63
	v_mul_f16_e32 v46, -0.5, v35
	v_mul_f16_e32 v63, 0xbaee, v50
	v_mul_f16_e32 v82, -0.5, v103
	v_fmac_f16_e32 v71, 0xbaee, v41
	v_mul_f16_e32 v41, 0x3aee, v74
	v_fmac_f16_e32 v46, 0x3aee, v58
	v_fmac_f16_e32 v63, 0.5, v74
	v_fmac_f16_e32 v82, 0xbaee, v102
	v_fmac_f16_e32 v70, 0.5, v72
	v_mul_f16_e32 v72, -0.5, v58
	v_fmac_f16_e32 v41, 0.5, v50
	v_add_f16_e32 v50, v17, v46
	v_add_f16_e32 v58, v66, v63
	v_sub_f16_e32 v17, v17, v46
	v_sub_f16_e32 v46, v66, v63
	v_add_f16_e32 v66, v29, v28
	v_add_f16_e32 v57, v68, v77
	;; [unrolled: 1-line block ×3, first 2 shown]
	v_sub_f16_e32 v45, v45, v82
	v_add_f16_e32 v81, v18, v56
	v_add_f16_e32 v82, v64, v70
	v_sub_f16_e32 v18, v18, v56
	v_sub_f16_e32 v56, v64, v70
	v_add_f16_e32 v62, v62, v33
	v_sub_f16_e32 v32, v32, v33
	v_add_f16_e32 v33, v25, v20
	v_add_f16_e32 v70, v19, v29
	v_fmac_f16_e32 v19, -0.5, v66
	v_sub_f16_e32 v66, v25, v20
	v_add_f16_e32 v73, v30, v24
	v_sub_f16_e32 v65, v30, v24
	v_add_f16_e32 v25, v15, v25
	v_fmac_f16_e32 v15, -0.5, v33
	v_sub_f16_e32 v29, v29, v28
	v_fmamk_f16 v33, v66, 0x3aee, v19
	v_mul_f16_e32 v79, -0.5, v102
	v_add_f16_e32 v30, v16, v30
	v_fmac_f16_e32 v16, -0.5, v73
	v_fmac_f16_e32 v19, 0xbaee, v66
	v_fmamk_f16 v63, v65, 0x3aee, v14
	v_fmac_f16_e32 v14, 0xbaee, v65
	v_fmamk_f16 v65, v29, 0xbaee, v15
	v_add_f16_e32 v20, v25, v20
	v_mul_f16_e32 v25, 0xbaee, v33
	v_fmac_f16_e32 v79, 0x3aee, v103
	v_add_f16_e32 v24, v30, v24
	v_fmamk_f16 v30, v32, 0xbaee, v16
	v_fmac_f16_e32 v16, 0x3aee, v32
	v_fmac_f16_e32 v15, 0x3aee, v29
	v_mul_f16_e32 v32, -0.5, v19
	v_fmac_f16_e32 v25, 0.5, v65
	v_add_f16_e32 v52, v60, v52
	v_add_f16_e32 v60, v99, v78
	;; [unrolled: 1-line block ×4, first 2 shown]
	v_mul_f16_e32 v29, 0x3aee, v65
	v_fmac_f16_e32 v32, 0x3aee, v15
	v_add_f16_e32 v53, v69, v53
	v_fmac_f16_e32 v87, 0.5, v85
	v_fmac_f16_e32 v75, 0x3aee, v104
	v_sub_f16_e32 v69, v99, v78
	v_sub_f16_e32 v54, v54, v80
	v_add_f16_e32 v28, v70, v28
	v_add_f16_e32 v65, v24, v20
	;; [unrolled: 1-line block ×3, first 2 shown]
	v_sub_f16_e32 v20, v24, v20
	v_sub_f16_e32 v24, v30, v25
	v_pack_b32_f16 v25, v55, v100
	v_sub_f16_e32 v27, v27, v79
	v_fmac_f16_e32 v29, 0.5, v33
	v_add_f16_e32 v33, v14, v32
	v_sub_f16_e32 v14, v14, v32
	v_pack_b32_f16 v30, v60, v67
	v_pack_b32_f16 v32, v61, v68
	v_add_f16_e32 v51, v52, v53
	v_add_f16_e32 v77, v57, v59
	v_sub_f16_e32 v52, v52, v53
	v_sub_f16_e32 v53, v57, v59
	v_add_f16_e32 v57, v83, v40
	v_add_f16_e32 v78, v84, v87
	v_mul_f16_e32 v66, -0.5, v15
	v_add_f16_e32 v59, v21, v75
	v_add_f16_e32 v79, v26, v88
	v_sub_f16_e32 v40, v83, v40
	v_sub_f16_e32 v21, v21, v75
	;; [unrolled: 1-line block ×4, first 2 shown]
	v_fmac_f16_e32 v72, 0xbaee, v35
	v_add_f16_e32 v80, v89, v36
	ds_write_b32 v6, v25
	ds_write2_b32 v6, v30, v32 offset0:80 offset1:160
	v_pack_b32_f16 v25, v31, v34
	v_pack_b32_f16 v30, v69, v54
	v_add_nc_u32_e32 v31, 0x200, v6
	v_add_f16_e32 v83, v22, v71
	v_pack_b32_f16 v27, v27, v45
	v_sub_f16_e32 v36, v89, v36
	v_sub_f16_e32 v22, v22, v71
	v_fmac_f16_e32 v66, 0xbaee, v19
	v_pack_b32_f16 v32, v37, v86
	v_pack_b32_f16 v34, v57, v78
	v_add_f16_e32 v35, v76, v41
	v_pack_b32_f16 v37, v59, v79
	v_pack_b32_f16 v38, v38, v39
	v_add_f16_e32 v64, v23, v72
	v_pack_b32_f16 v39, v40, v75
	v_pack_b32_f16 v21, v21, v26
	v_add_nc_u32_e32 v26, 0x400, v44
	v_sub_f16_e32 v41, v76, v41
	v_sub_f16_e32 v23, v23, v72
	ds_write2_b32 v31, v25, v30 offset0:112 offset1:192
	ds_write_b32 v6, v27 offset:1600
	ds_write2_b32 v44, v32, v34 offset1:80
	ds_write2_b32 v44, v37, v38 offset0:160 offset1:240
	ds_write2_b32 v26, v39, v21 offset0:64 offset1:144
	v_pack_b32_f16 v21, v47, v90
	v_pack_b32_f16 v25, v80, v82
	v_add_f16_e32 v15, v62, v28
	v_pack_b32_f16 v26, v81, v83
	v_pack_b32_f16 v27, v48, v49
	v_add_f16_e32 v19, v63, v29
	v_add_f16_e32 v71, v16, v66
	v_pack_b32_f16 v30, v36, v56
	v_pack_b32_f16 v18, v18, v22
	v_add_nc_u32_e32 v22, 0x400, v43
	v_sub_f16_e32 v28, v62, v28
	v_sub_f16_e32 v29, v63, v29
	v_pack_b32_f16 v31, v51, v77
	v_pack_b32_f16 v32, v35, v58
	v_sub_f16_e32 v16, v16, v66
	v_pack_b32_f16 v34, v50, v64
	v_pack_b32_f16 v35, v52, v53
	ds_write2_b32 v43, v21, v25 offset1:80
	ds_write2_b32 v43, v26, v27 offset0:160 offset1:240
	ds_write2_b32 v22, v30, v18 offset0:64 offset1:144
	ds_write2_b32 v10, v31, v32 offset1:80
	ds_write2_b32 v10, v34, v35 offset0:160 offset1:240
	v_pack_b32_f16 v18, v41, v46
	v_pack_b32_f16 v17, v17, v23
	v_add_nc_u32_e32 v10, 0x400, v10
	v_pack_b32_f16 v15, v15, v65
	v_pack_b32_f16 v19, v19, v70
	v_pack_b32_f16 v21, v33, v71
	v_pack_b32_f16 v20, v28, v20
	v_pack_b32_f16 v22, v29, v24
	v_pack_b32_f16 v14, v14, v16
	ds_write2_b32 v10, v18, v17 offset0:64 offset1:144
	ds_write_b32 v6, v15 offset:256
	ds_write2_b32 v6, v19, v21 offset0:144 offset1:224
	ds_write2_b32 v12, v20, v22 offset0:48 offset1:128
	ds_write_b32 v6, v14 offset:1856
	s_waitcnt lgkmcnt(0)
	s_barrier
	buffer_gl0_inv
	ds_read_b32 v6, v42
                                        ; implicit-def: $vgpr17
                                        ; implicit-def: $vgpr15
                                        ; implicit-def: $vgpr16
	v_cmpx_ne_u32_e32 0, v11
	s_xor_b32 s1, exec_lo, s1
	s_cbranch_execz .LBB0_19
; %bb.18:
	v_mov_b32_e32 v12, 0
	v_lshlrev_b64 v[14:15], 2, v[11:12]
	v_add_co_u32 v14, s0, s12, v14
	v_add_co_ci_u32_e64 v15, s0, s13, v15, s0
	global_load_dword v10, v[14:15], off offset:1880
	ds_read_b32 v14, v2 offset:1920
	s_waitcnt lgkmcnt(0)
	v_sub_f16_e32 v15, v6, v14
	v_add_f16_sdwa v16, v14, v6 dst_sel:DWORD dst_unused:UNUSED_PAD src0_sel:WORD_1 src1_sel:WORD_1
	v_sub_f16_sdwa v17, v6, v14 dst_sel:DWORD dst_unused:UNUSED_PAD src0_sel:WORD_1 src1_sel:WORD_1
	v_add_f16_e32 v6, v14, v6
	v_mul_f16_e32 v18, 0.5, v15
	v_mul_f16_e32 v14, 0.5, v16
	;; [unrolled: 1-line block ×3, first 2 shown]
	s_waitcnt vmcnt(0)
	v_lshrrev_b32_e32 v15, 16, v10
	v_mul_f16_e32 v17, v15, v18
	v_fma_f16 v19, v14, v15, v16
	v_fma_f16 v20, 0.5, v6, v17
	v_fma_f16 v6, v6, 0.5, -v17
	v_fma_f16 v17, v14, v15, -v16
	v_fma_f16 v16, -v10, v18, v19
	v_fmac_f16_e32 v20, v10, v14
	v_fma_f16 v15, -v10, v14, v6
	v_fma_f16 v17, -v10, v18, v17
                                        ; implicit-def: $vgpr6
	ds_write_b16 v42, v20
.LBB0_19:
	s_andn2_saveexec_b32 s0, s1
	s_cbranch_execz .LBB0_21
; %bb.20:
	ds_read_u16 v10, v0 offset:962
	v_mov_b32_e32 v11, 0
	s_waitcnt lgkmcnt(1)
	v_add_f16_sdwa v14, v6, v6 dst_sel:DWORD dst_unused:UNUSED_PAD src0_sel:WORD_1 src1_sel:DWORD
	v_sub_f16_sdwa v15, v6, v6 dst_sel:DWORD dst_unused:UNUSED_PAD src0_sel:DWORD src1_sel:WORD_1
	v_mov_b32_e32 v12, 0
	v_mov_b32_e32 v16, 0
	v_mov_b32_e32 v17, 0
	s_waitcnt lgkmcnt(0)
	v_xor_b32_e32 v6, 0x8000, v10
	ds_write_b16 v42, v14
	ds_write_b16 v0, v6 offset:962
.LBB0_21:
	s_or_b32 exec_lo, exec_lo, s0
	s_waitcnt lgkmcnt(0)
	v_mov_b32_e32 v6, 0
	v_perm_b32 v15, v17, v15, 0x5040100
	v_lshlrev_b64 v[18:19], 2, v[5:6]
	v_mov_b32_e32 v14, v6
	v_mov_b32_e32 v10, v6
	v_lshlrev_b64 v[13:14], 2, v[13:14]
	v_add_co_u32 v18, s0, s12, v18
	v_add_co_ci_u32_e64 v19, s0, s13, v19, s0
	v_add_co_u32 v13, s0, s12, v13
	global_load_dword v5, v[18:19], off offset:1880
	v_add_co_ci_u32_e64 v14, s0, s13, v14, s0
	global_load_dword v18, v[13:14], off offset:1880
	v_lshlrev_b64 v[13:14], 2, v[9:10]
	v_lshlrev_b64 v[10:11], 2, v[11:12]
	v_lshl_add_u32 v9, v9, 2, v0
	v_add_co_u32 v13, s0, s12, v13
	v_add_co_ci_u32_e64 v14, s0, s13, v14, s0
	s_add_u32 s0, s12, 0x758
	s_addc_u32 s1, s13, 0
	v_add_co_u32 v10, s0, s0, v10
	global_load_dword v13, v[13:14], off offset:1880
	v_add_co_ci_u32_e64 v11, s0, s1, v11, s0
	s_clause 0x1
	global_load_dword v12, v[10:11], off offset:256
	global_load_dword v14, v[10:11], off offset:320
	ds_write_b16 v42, v16 offset:2
	ds_write_b32 v2, v15 offset:1920
	ds_read_b32 v15, v44
	ds_read_b32 v16, v2 offset:1856
	global_load_dword v17, v[10:11], off offset:384
	s_waitcnt lgkmcnt(0)
	v_pk_add_f16 v19, v15, v16 neg_lo:[0,1] neg_hi:[0,1]
	v_pk_add_f16 v15, v15, v16
	v_bfi_b32 v16, 0xffff, v19, v15
	v_bfi_b32 v15, 0xffff, v15, v19
	s_clause 0x1
	global_load_dword v19, v[10:11], off offset:448
	global_load_dword v20, v[10:11], off offset:512
	v_pk_mul_f16 v16, v16, 0.5 op_sel_hi:[1,0]
	v_pk_mul_f16 v15, v15, 0.5 op_sel_hi:[1,0]
	s_waitcnt vmcnt(7)
	v_pk_fma_f16 v21, v5, v16, v15 op_sel:[1,0,0]
	v_pk_mul_f16 v22, v5, v16 op_sel_hi:[0,1]
	v_pk_fma_f16 v23, v5, v16, v15 op_sel:[1,0,0] neg_lo:[1,0,0] neg_hi:[1,0,0]
	v_pk_fma_f16 v5, v5, v16, v15 op_sel:[1,0,0] neg_lo:[0,0,1] neg_hi:[0,0,1]
	v_pk_add_f16 v15, v21, v22 op_sel:[0,1] op_sel_hi:[1,0]
	v_pk_add_f16 v16, v21, v22 op_sel:[0,1] op_sel_hi:[1,0] neg_lo:[0,1] neg_hi:[0,1]
	v_pk_add_f16 v21, v23, v22 op_sel:[0,1] op_sel_hi:[1,0] neg_lo:[0,1] neg_hi:[0,1]
	;; [unrolled: 1-line block ×3, first 2 shown]
	v_bfi_b32 v15, 0xffff, v15, v16
	v_bfi_b32 v5, 0xffff, v21, v5
	ds_write_b32 v44, v15
	ds_write_b32 v2, v5 offset:1856
	ds_read_b32 v5, v43
	ds_read_b32 v15, v2 offset:1792
	s_waitcnt lgkmcnt(0)
	v_pk_add_f16 v16, v5, v15 neg_lo:[0,1] neg_hi:[0,1]
	v_pk_add_f16 v5, v5, v15
	v_bfi_b32 v15, 0xffff, v16, v5
	v_bfi_b32 v5, 0xffff, v5, v16
	v_pk_mul_f16 v15, v15, 0.5 op_sel_hi:[1,0]
	v_pk_mul_f16 v5, v5, 0.5 op_sel_hi:[1,0]
	s_waitcnt vmcnt(6)
	v_pk_mul_f16 v21, v18, v15 op_sel_hi:[0,1]
	v_pk_fma_f16 v16, v18, v15, v5 op_sel:[1,0,0]
	v_pk_fma_f16 v22, v18, v15, v5 op_sel:[1,0,0] neg_lo:[1,0,0] neg_hi:[1,0,0]
	v_pk_fma_f16 v5, v18, v15, v5 op_sel:[1,0,0] neg_lo:[0,0,1] neg_hi:[0,0,1]
	v_pk_add_f16 v15, v16, v21 op_sel:[0,1] op_sel_hi:[1,0]
	v_pk_add_f16 v16, v16, v21 op_sel:[0,1] op_sel_hi:[1,0] neg_lo:[0,1] neg_hi:[0,1]
	v_pk_add_f16 v18, v22, v21 op_sel:[0,1] op_sel_hi:[1,0] neg_lo:[0,1] neg_hi:[0,1]
	;; [unrolled: 1-line block ×3, first 2 shown]
	v_bfi_b32 v15, 0xffff, v15, v16
	v_bfi_b32 v5, 0xffff, v18, v5
	ds_write_b32 v43, v15
	ds_write_b32 v2, v5 offset:1792
	ds_read_b32 v5, v9
	ds_read_b32 v15, v2 offset:1728
	s_waitcnt lgkmcnt(0)
	v_pk_add_f16 v16, v5, v15 neg_lo:[0,1] neg_hi:[0,1]
	v_pk_add_f16 v5, v5, v15
	v_bfi_b32 v15, 0xffff, v16, v5
	v_bfi_b32 v5, 0xffff, v5, v16
	v_pk_mul_f16 v15, v15, 0.5 op_sel_hi:[1,0]
	v_pk_mul_f16 v5, v5, 0.5 op_sel_hi:[1,0]
	s_waitcnt vmcnt(5)
	v_pk_mul_f16 v18, v13, v15 op_sel_hi:[0,1]
	v_pk_fma_f16 v16, v13, v15, v5 op_sel:[1,0,0]
	v_pk_fma_f16 v21, v13, v15, v5 op_sel:[1,0,0] neg_lo:[1,0,0] neg_hi:[1,0,0]
	v_pk_fma_f16 v5, v13, v15, v5 op_sel:[1,0,0] neg_lo:[0,0,1] neg_hi:[0,0,1]
	v_pk_add_f16 v13, v16, v18 op_sel:[0,1] op_sel_hi:[1,0]
	v_pk_add_f16 v15, v16, v18 op_sel:[0,1] op_sel_hi:[1,0] neg_lo:[0,1] neg_hi:[0,1]
	v_pk_add_f16 v16, v21, v18 op_sel:[0,1] op_sel_hi:[1,0] neg_lo:[0,1] neg_hi:[0,1]
	;; [unrolled: 1-line block ×3, first 2 shown]
	v_bfi_b32 v13, 0xffff, v13, v15
	v_bfi_b32 v5, 0xffff, v16, v5
	ds_write_b32 v9, v13
	ds_write_b32 v2, v5 offset:1728
	ds_read_b32 v5, v42 offset:256
	ds_read_b32 v9, v2 offset:1664
	global_load_dword v13, v[10:11], off offset:576
	s_waitcnt lgkmcnt(0)
	v_pk_add_f16 v15, v5, v9 neg_lo:[0,1] neg_hi:[0,1]
	v_pk_add_f16 v5, v5, v9
	v_bfi_b32 v9, 0xffff, v15, v5
	v_bfi_b32 v5, 0xffff, v5, v15
	v_pk_mul_f16 v9, v9, 0.5 op_sel_hi:[1,0]
	v_pk_mul_f16 v5, v5, 0.5 op_sel_hi:[1,0]
	s_waitcnt vmcnt(5)
	v_pk_mul_f16 v16, v12, v9 op_sel_hi:[0,1]
	v_pk_fma_f16 v15, v12, v9, v5 op_sel:[1,0,0]
	v_pk_fma_f16 v18, v12, v9, v5 op_sel:[1,0,0] neg_lo:[1,0,0] neg_hi:[1,0,0]
	v_pk_fma_f16 v5, v12, v9, v5 op_sel:[1,0,0] neg_lo:[0,0,1] neg_hi:[0,0,1]
	v_pk_add_f16 v9, v15, v16 op_sel:[0,1] op_sel_hi:[1,0]
	v_pk_add_f16 v12, v15, v16 op_sel:[0,1] op_sel_hi:[1,0] neg_lo:[0,1] neg_hi:[0,1]
	v_pk_add_f16 v15, v18, v16 op_sel:[0,1] op_sel_hi:[1,0] neg_lo:[0,1] neg_hi:[0,1]
	v_pk_add_f16 v5, v5, v16 op_sel:[0,1] op_sel_hi:[1,0] neg_lo:[0,1] neg_hi:[0,1]
	v_bfi_b32 v9, 0xffff, v9, v12
	v_bfi_b32 v5, 0xffff, v15, v5
	ds_write_b32 v42, v9 offset:256
	ds_write_b32 v2, v5 offset:1664
	ds_read_b32 v5, v42 offset:320
	ds_read_b32 v9, v2 offset:1600
	global_load_dword v12, v[10:11], off offset:640
	s_waitcnt lgkmcnt(0)
	v_pk_add_f16 v15, v5, v9 neg_lo:[0,1] neg_hi:[0,1]
	v_pk_add_f16 v5, v5, v9
	v_bfi_b32 v9, 0xffff, v15, v5
	v_bfi_b32 v5, 0xffff, v5, v15
	v_pk_mul_f16 v9, v9, 0.5 op_sel_hi:[1,0]
	v_pk_mul_f16 v5, v5, 0.5 op_sel_hi:[1,0]
	s_waitcnt vmcnt(5)
	v_pk_mul_f16 v16, v14, v9 op_sel_hi:[0,1]
	v_pk_fma_f16 v15, v14, v9, v5 op_sel:[1,0,0]
	v_pk_fma_f16 v18, v14, v9, v5 op_sel:[1,0,0] neg_lo:[1,0,0] neg_hi:[1,0,0]
	v_pk_fma_f16 v5, v14, v9, v5 op_sel:[1,0,0] neg_lo:[0,0,1] neg_hi:[0,0,1]
	v_pk_add_f16 v9, v15, v16 op_sel:[0,1] op_sel_hi:[1,0]
	v_pk_add_f16 v14, v15, v16 op_sel:[0,1] op_sel_hi:[1,0] neg_lo:[0,1] neg_hi:[0,1]
	v_pk_add_f16 v15, v18, v16 op_sel:[0,1] op_sel_hi:[1,0] neg_lo:[0,1] neg_hi:[0,1]
	v_pk_add_f16 v5, v5, v16 op_sel:[0,1] op_sel_hi:[1,0] neg_lo:[0,1] neg_hi:[0,1]
	v_bfi_b32 v9, 0xffff, v9, v14
	v_bfi_b32 v5, 0xffff, v15, v5
	ds_write_b32 v42, v9 offset:320
	;; [unrolled: 23-line block ×5, first 2 shown]
	ds_write_b32 v2, v5 offset:1408
	ds_read_b32 v5, v42 offset:576
	ds_read_b32 v9, v2 offset:1344
	global_load_dword v10, v[10:11], off offset:896
	s_waitcnt lgkmcnt(0)
	v_pk_add_f16 v11, v5, v9 neg_lo:[0,1] neg_hi:[0,1]
	v_pk_add_f16 v5, v5, v9
	v_bfi_b32 v9, 0xffff, v11, v5
	v_bfi_b32 v5, 0xffff, v5, v11
	v_pk_mul_f16 v9, v9, 0.5 op_sel_hi:[1,0]
	v_pk_mul_f16 v5, v5, 0.5 op_sel_hi:[1,0]
	s_waitcnt vmcnt(5)
	v_pk_fma_f16 v11, v13, v9, v5 op_sel:[1,0,0]
	v_pk_mul_f16 v17, v13, v9 op_sel_hi:[0,1]
	v_pk_fma_f16 v18, v13, v9, v5 op_sel:[1,0,0] neg_lo:[1,0,0] neg_hi:[1,0,0]
	v_pk_fma_f16 v5, v13, v9, v5 op_sel:[1,0,0] neg_lo:[0,0,1] neg_hi:[0,0,1]
	v_pk_add_f16 v9, v11, v17 op_sel:[0,1] op_sel_hi:[1,0]
	v_pk_add_f16 v11, v11, v17 op_sel:[0,1] op_sel_hi:[1,0] neg_lo:[0,1] neg_hi:[0,1]
	v_pk_add_f16 v13, v18, v17 op_sel:[0,1] op_sel_hi:[1,0] neg_lo:[0,1] neg_hi:[0,1]
	v_pk_add_f16 v5, v5, v17 op_sel:[0,1] op_sel_hi:[1,0] neg_lo:[0,1] neg_hi:[0,1]
	v_bfi_b32 v9, 0xffff, v9, v11
	v_bfi_b32 v5, 0xffff, v13, v5
	ds_write_b32 v42, v9 offset:576
	ds_write_b32 v2, v5 offset:1344
	ds_read_b32 v5, v42 offset:640
	ds_read_b32 v9, v2 offset:1280
	s_waitcnt lgkmcnt(0)
	v_pk_add_f16 v11, v5, v9 neg_lo:[0,1] neg_hi:[0,1]
	v_pk_add_f16 v5, v5, v9
	v_bfi_b32 v9, 0xffff, v11, v5
	v_bfi_b32 v5, 0xffff, v5, v11
	v_pk_mul_f16 v9, v9, 0.5 op_sel_hi:[1,0]
	v_pk_mul_f16 v5, v5, 0.5 op_sel_hi:[1,0]
	s_waitcnt vmcnt(4)
	v_pk_mul_f16 v13, v12, v9 op_sel_hi:[0,1]
	v_pk_fma_f16 v11, v12, v9, v5 op_sel:[1,0,0]
	v_pk_fma_f16 v17, v12, v9, v5 op_sel:[1,0,0] neg_lo:[1,0,0] neg_hi:[1,0,0]
	v_pk_fma_f16 v5, v12, v9, v5 op_sel:[1,0,0] neg_lo:[0,0,1] neg_hi:[0,0,1]
	v_pk_add_f16 v9, v11, v13 op_sel:[0,1] op_sel_hi:[1,0]
	v_pk_add_f16 v11, v11, v13 op_sel:[0,1] op_sel_hi:[1,0] neg_lo:[0,1] neg_hi:[0,1]
	v_pk_add_f16 v12, v17, v13 op_sel:[0,1] op_sel_hi:[1,0] neg_lo:[0,1] neg_hi:[0,1]
	v_pk_add_f16 v5, v5, v13 op_sel:[0,1] op_sel_hi:[1,0] neg_lo:[0,1] neg_hi:[0,1]
	v_bfi_b32 v9, 0xffff, v9, v11
	v_bfi_b32 v5, 0xffff, v12, v5
	ds_write_b32 v42, v9 offset:640
	ds_write_b32 v2, v5 offset:1280
	ds_read_b32 v5, v42 offset:704
	ds_read_b32 v9, v2 offset:1216
	s_waitcnt lgkmcnt(0)
	v_pk_add_f16 v11, v5, v9 neg_lo:[0,1] neg_hi:[0,1]
	v_pk_add_f16 v5, v5, v9
	v_bfi_b32 v9, 0xffff, v11, v5
	v_bfi_b32 v5, 0xffff, v5, v11
	v_pk_mul_f16 v9, v9, 0.5 op_sel_hi:[1,0]
	v_pk_mul_f16 v5, v5, 0.5 op_sel_hi:[1,0]
	s_waitcnt vmcnt(3)
	v_pk_mul_f16 v12, v14, v9 op_sel_hi:[0,1]
	v_pk_fma_f16 v11, v14, v9, v5 op_sel:[1,0,0]
	;; [unrolled: 22-line block ×5, first 2 shown]
	v_pk_fma_f16 v13, v10, v9, v5 op_sel:[1,0,0] neg_lo:[1,0,0] neg_hi:[1,0,0]
	v_pk_fma_f16 v5, v10, v9, v5 op_sel:[1,0,0] neg_lo:[0,0,1] neg_hi:[0,0,1]
	v_pk_add_f16 v9, v11, v12 op_sel:[0,1] op_sel_hi:[1,0]
	v_pk_add_f16 v10, v11, v12 op_sel:[0,1] op_sel_hi:[1,0] neg_lo:[0,1] neg_hi:[0,1]
	v_pk_add_f16 v11, v13, v12 op_sel:[0,1] op_sel_hi:[1,0] neg_lo:[0,1] neg_hi:[0,1]
	v_pk_add_f16 v5, v5, v12 op_sel:[0,1] op_sel_hi:[1,0] neg_lo:[0,1] neg_hi:[0,1]
	v_bfi_b32 v9, 0xffff, v9, v10
	v_bfi_b32 v5, 0xffff, v11, v5
	ds_write_b32 v42, v9 offset:896
	ds_write_b32 v2, v5 offset:1024
	s_waitcnt lgkmcnt(0)
	s_barrier
	buffer_gl0_inv
	s_and_saveexec_b32 s0, vcc_lo
	s_cbranch_execz .LBB0_24
; %bb.22:
	v_mul_lo_u32 v2, s3, v7
	v_mul_lo_u32 v5, s2, v8
	v_mad_u64_u32 v[7:8], null, s2, v7, 0
	v_lshl_add_u32 v0, v1, 2, v0
	v_lshlrev_b64 v[3:4], 2, v[3:4]
	ds_read2_b32 v[9:10], v0 offset1:16
	v_add3_u32 v8, v8, v5, v2
	v_mov_b32_e32 v2, v6
	v_add_nc_u32_e32 v5, 16, v1
	ds_read2_b32 v[15:16], v0 offset0:32 offset1:48
	v_lshlrev_b64 v[7:8], 2, v[7:8]
	v_lshlrev_b64 v[11:12], 2, v[1:2]
	;; [unrolled: 1-line block ×3, first 2 shown]
	v_add_nc_u32_e32 v5, 32, v1
	v_add_co_u32 v2, vcc_lo, s10, v7
	v_add_co_ci_u32_e32 v7, vcc_lo, s11, v8, vcc_lo
	v_add_co_u32 v2, vcc_lo, v2, v3
	v_add_co_ci_u32_e32 v3, vcc_lo, v7, v4, vcc_lo
	v_lshlrev_b64 v[7:8], 2, v[5:6]
	v_add_co_u32 v11, vcc_lo, v2, v11
	v_add_co_ci_u32_e32 v12, vcc_lo, v3, v12, vcc_lo
	v_add_co_u32 v13, vcc_lo, v2, v13
	v_add_co_ci_u32_e32 v14, vcc_lo, v3, v14, vcc_lo
	v_add_nc_u32_e32 v5, 48, v1
	s_waitcnt lgkmcnt(1)
	global_store_dword v[11:12], v9, off
	global_store_dword v[13:14], v10, off
	ds_read2_b32 v[11:12], v0 offset0:64 offset1:80
	v_add_co_u32 v7, vcc_lo, v2, v7
	v_lshlrev_b64 v[9:10], 2, v[5:6]
	v_add_nc_u32_e32 v5, 64, v1
	v_add_co_ci_u32_e32 v8, vcc_lo, v3, v8, vcc_lo
	v_add_nc_u32_e32 v4, 0x400, v0
	v_lshlrev_b64 v[13:14], 2, v[5:6]
	v_add_co_u32 v9, vcc_lo, v2, v9
	v_add_co_ci_u32_e32 v10, vcc_lo, v3, v10, vcc_lo
	v_add_nc_u32_e32 v5, 0x50, v1
	v_add_co_u32 v13, vcc_lo, v2, v13
	v_add_co_ci_u32_e32 v14, vcc_lo, v3, v14, vcc_lo
	v_lshlrev_b64 v[17:18], 2, v[5:6]
	v_add_nc_u32_e32 v5, 0x60, v1
	s_waitcnt lgkmcnt(1)
	global_store_dword v[7:8], v15, off
	global_store_dword v[9:10], v16, off
	s_waitcnt lgkmcnt(0)
	global_store_dword v[13:14], v11, off
	ds_read2_b32 v[7:8], v0 offset0:96 offset1:112
	v_lshlrev_b64 v[9:10], 2, v[5:6]
	v_add_nc_u32_e32 v5, 0x70, v1
	v_add_co_u32 v13, vcc_lo, v2, v17
	v_add_co_ci_u32_e32 v14, vcc_lo, v3, v18, vcc_lo
	v_lshlrev_b64 v[15:16], 2, v[5:6]
	v_add_nc_u32_e32 v5, 0x80, v1
	v_add_co_u32 v9, vcc_lo, v2, v9
	v_add_co_ci_u32_e32 v10, vcc_lo, v3, v10, vcc_lo
	v_add_co_u32 v15, vcc_lo, v2, v15
	v_lshlrev_b64 v[17:18], 2, v[5:6]
	v_add_nc_u32_e32 v5, 0x90, v1
	v_add_co_ci_u32_e32 v16, vcc_lo, v3, v16, vcc_lo
	global_store_dword v[13:14], v12, off
	s_waitcnt lgkmcnt(0)
	global_store_dword v[9:10], v7, off
	global_store_dword v[15:16], v8, off
	ds_read2_b32 v[7:8], v0 offset0:128 offset1:144
	v_lshlrev_b64 v[9:10], 2, v[5:6]
	v_add_nc_u32_e32 v5, 0xa0, v1
	ds_read2_b32 v[13:14], v0 offset0:160 offset1:176
	v_add_co_u32 v11, vcc_lo, v2, v17
	v_add_co_ci_u32_e32 v12, vcc_lo, v3, v18, vcc_lo
	v_lshlrev_b64 v[15:16], 2, v[5:6]
	v_add_nc_u32_e32 v5, 0xb0, v1
	v_add_co_u32 v9, vcc_lo, v2, v9
	v_add_co_ci_u32_e32 v10, vcc_lo, v3, v10, vcc_lo
	v_lshlrev_b64 v[17:18], 2, v[5:6]
	v_add_nc_u32_e32 v5, 0xc0, v1
	ds_read2_b32 v[19:20], v0 offset0:192 offset1:208
	v_add_co_u32 v15, vcc_lo, v2, v15
	v_add_co_ci_u32_e32 v16, vcc_lo, v3, v16, vcc_lo
	v_lshlrev_b64 v[21:22], 2, v[5:6]
	v_add_nc_u32_e32 v5, 0xd0, v1
	v_add_co_u32 v17, vcc_lo, v2, v17
	v_add_co_ci_u32_e32 v18, vcc_lo, v3, v18, vcc_lo
	s_waitcnt lgkmcnt(2)
	global_store_dword v[11:12], v7, off
	global_store_dword v[9:10], v8, off
	s_waitcnt lgkmcnt(1)
	global_store_dword v[15:16], v13, off
	global_store_dword v[17:18], v14, off
	v_lshlrev_b64 v[7:8], 2, v[5:6]
	v_add_co_u32 v9, vcc_lo, v2, v21
	v_add_co_ci_u32_e32 v10, vcc_lo, v3, v22, vcc_lo
	v_add_nc_u32_e32 v5, 0xe0, v1
	v_add_co_u32 v7, vcc_lo, v2, v7
	v_add_co_ci_u32_e32 v8, vcc_lo, v3, v8, vcc_lo
	v_lshlrev_b64 v[11:12], 2, v[5:6]
	v_add_nc_u32_e32 v5, 0xf0, v1
	s_waitcnt lgkmcnt(0)
	global_store_dword v[9:10], v19, off
	global_store_dword v[7:8], v20, off
	ds_read2_b32 v[7:8], v0 offset0:224 offset1:240
	ds_read2_b32 v[13:14], v4 offset1:16
	v_lshlrev_b64 v[9:10], 2, v[5:6]
	v_add_nc_u32_e32 v5, 0x100, v1
	v_add_co_u32 v11, vcc_lo, v2, v11
	v_add_co_ci_u32_e32 v12, vcc_lo, v3, v12, vcc_lo
	v_lshlrev_b64 v[15:16], 2, v[5:6]
	v_add_co_u32 v9, vcc_lo, v2, v9
	v_add_co_ci_u32_e32 v10, vcc_lo, v3, v10, vcc_lo
	v_add_nc_u32_e32 v5, 0x110, v1
	v_add_co_u32 v15, vcc_lo, v2, v15
	v_add_co_ci_u32_e32 v16, vcc_lo, v3, v16, vcc_lo
	v_lshlrev_b64 v[17:18], 2, v[5:6]
	v_add_nc_u32_e32 v5, 0x120, v1
	s_waitcnt lgkmcnt(1)
	global_store_dword v[11:12], v7, off
	global_store_dword v[9:10], v8, off
	s_waitcnt lgkmcnt(0)
	global_store_dword v[15:16], v13, off
	ds_read2_b32 v[7:8], v4 offset0:32 offset1:48
	v_lshlrev_b64 v[9:10], 2, v[5:6]
	v_add_nc_u32_e32 v5, 0x130, v1
	v_add_co_u32 v11, vcc_lo, v2, v17
	v_add_co_ci_u32_e32 v12, vcc_lo, v3, v18, vcc_lo
	v_lshlrev_b64 v[15:16], 2, v[5:6]
	v_add_co_u32 v9, vcc_lo, v2, v9
	v_add_co_ci_u32_e32 v10, vcc_lo, v3, v10, vcc_lo
	v_add_nc_u32_e32 v5, 0x140, v1
	v_add_co_u32 v15, vcc_lo, v2, v15
	v_add_co_ci_u32_e32 v16, vcc_lo, v3, v16, vcc_lo
	v_lshlrev_b64 v[17:18], 2, v[5:6]
	v_add_nc_u32_e32 v5, 0x150, v1
	global_store_dword v[11:12], v14, off
	s_waitcnt lgkmcnt(0)
	global_store_dword v[9:10], v7, off
	global_store_dword v[15:16], v8, off
	ds_read2_b32 v[7:8], v4 offset0:64 offset1:80
	ds_read2_b32 v[11:12], v4 offset0:96 offset1:112
	v_lshlrev_b64 v[9:10], 2, v[5:6]
	v_add_nc_u32_e32 v5, 0x160, v1
	v_add_co_u32 v13, vcc_lo, v2, v17
	v_add_co_ci_u32_e32 v14, vcc_lo, v3, v18, vcc_lo
	v_lshlrev_b64 v[15:16], 2, v[5:6]
	v_add_co_u32 v9, vcc_lo, v2, v9
	v_add_co_ci_u32_e32 v10, vcc_lo, v3, v10, vcc_lo
	v_add_nc_u32_e32 v5, 0x170, v1
	v_add_co_u32 v15, vcc_lo, v2, v15
	v_add_co_ci_u32_e32 v16, vcc_lo, v3, v16, vcc_lo
	v_lshlrev_b64 v[17:18], 2, v[5:6]
	v_add_nc_u32_e32 v5, 0x180, v1
	s_waitcnt lgkmcnt(1)
	global_store_dword v[13:14], v7, off
	global_store_dword v[9:10], v8, off
	s_waitcnt lgkmcnt(0)
	global_store_dword v[15:16], v11, off
	ds_read2_b32 v[7:8], v4 offset0:128 offset1:144
	v_lshlrev_b64 v[9:10], 2, v[5:6]
	v_add_nc_u32_e32 v5, 0x190, v1
	v_add_co_u32 v13, vcc_lo, v2, v17
	v_add_co_ci_u32_e32 v14, vcc_lo, v3, v18, vcc_lo
	v_lshlrev_b64 v[15:16], 2, v[5:6]
	v_add_nc_u32_e32 v5, 0x1a0, v1
	v_add_co_u32 v9, vcc_lo, v2, v9
	v_add_co_ci_u32_e32 v10, vcc_lo, v3, v10, vcc_lo
	v_add_co_u32 v15, vcc_lo, v2, v15
	v_lshlrev_b64 v[17:18], 2, v[5:6]
	v_add_nc_u32_e32 v5, 0x1b0, v1
	v_add_co_ci_u32_e32 v16, vcc_lo, v3, v16, vcc_lo
	global_store_dword v[13:14], v12, off
	s_waitcnt lgkmcnt(0)
	global_store_dword v[9:10], v7, off
	global_store_dword v[15:16], v8, off
	v_lshlrev_b64 v[9:10], 2, v[5:6]
	v_add_nc_u32_e32 v5, 0x1c0, v1
	ds_read2_b32 v[7:8], v4 offset0:160 offset1:176
	ds_read2_b32 v[11:12], v4 offset0:192 offset1:208
	v_add_co_u32 v13, vcc_lo, v2, v17
	v_lshlrev_b64 v[15:16], 2, v[5:6]
	v_add_nc_u32_e32 v5, 0x1d0, v1
	v_add_co_ci_u32_e32 v14, vcc_lo, v3, v18, vcc_lo
	v_add_co_u32 v9, vcc_lo, v2, v9
	v_lshlrev_b64 v[4:5], 2, v[5:6]
	v_add_co_ci_u32_e32 v10, vcc_lo, v3, v10, vcc_lo
	v_add_co_u32 v15, vcc_lo, v2, v15
	v_add_co_ci_u32_e32 v16, vcc_lo, v3, v16, vcc_lo
	v_add_co_u32 v4, vcc_lo, v2, v4
	v_add_co_ci_u32_e32 v5, vcc_lo, v3, v5, vcc_lo
	v_cmp_eq_u32_e32 vcc_lo, 15, v1
	s_waitcnt lgkmcnt(1)
	global_store_dword v[13:14], v7, off
	global_store_dword v[9:10], v8, off
	s_waitcnt lgkmcnt(0)
	global_store_dword v[15:16], v11, off
	global_store_dword v[4:5], v12, off
	s_and_b32 exec_lo, exec_lo, vcc_lo
	s_cbranch_execz .LBB0_24
; %bb.23:
	ds_read_b32 v0, v0 offset:1860
	s_waitcnt lgkmcnt(0)
	global_store_dword v[2:3], v0, off offset:1920
.LBB0_24:
	s_endpgm
	.section	.rodata,"a",@progbits
	.p2align	6, 0x0
	.amdhsa_kernel fft_rtc_fwd_len480_factors_10_8_6_wgs_64_tpt_16_halfLds_half_op_CI_CI_unitstride_sbrr_R2C_dirReg
		.amdhsa_group_segment_fixed_size 0
		.amdhsa_private_segment_fixed_size 0
		.amdhsa_kernarg_size 104
		.amdhsa_user_sgpr_count 6
		.amdhsa_user_sgpr_private_segment_buffer 1
		.amdhsa_user_sgpr_dispatch_ptr 0
		.amdhsa_user_sgpr_queue_ptr 0
		.amdhsa_user_sgpr_kernarg_segment_ptr 1
		.amdhsa_user_sgpr_dispatch_id 0
		.amdhsa_user_sgpr_flat_scratch_init 0
		.amdhsa_user_sgpr_private_segment_size 0
		.amdhsa_wavefront_size32 1
		.amdhsa_uses_dynamic_stack 0
		.amdhsa_system_sgpr_private_segment_wavefront_offset 0
		.amdhsa_system_sgpr_workgroup_id_x 1
		.amdhsa_system_sgpr_workgroup_id_y 0
		.amdhsa_system_sgpr_workgroup_id_z 0
		.amdhsa_system_sgpr_workgroup_info 0
		.amdhsa_system_vgpr_workitem_id 0
		.amdhsa_next_free_vgpr 128
		.amdhsa_next_free_sgpr 27
		.amdhsa_reserve_vcc 1
		.amdhsa_reserve_flat_scratch 0
		.amdhsa_float_round_mode_32 0
		.amdhsa_float_round_mode_16_64 0
		.amdhsa_float_denorm_mode_32 3
		.amdhsa_float_denorm_mode_16_64 3
		.amdhsa_dx10_clamp 1
		.amdhsa_ieee_mode 1
		.amdhsa_fp16_overflow 0
		.amdhsa_workgroup_processor_mode 1
		.amdhsa_memory_ordered 1
		.amdhsa_forward_progress 0
		.amdhsa_shared_vgpr_count 0
		.amdhsa_exception_fp_ieee_invalid_op 0
		.amdhsa_exception_fp_denorm_src 0
		.amdhsa_exception_fp_ieee_div_zero 0
		.amdhsa_exception_fp_ieee_overflow 0
		.amdhsa_exception_fp_ieee_underflow 0
		.amdhsa_exception_fp_ieee_inexact 0
		.amdhsa_exception_int_div_zero 0
	.end_amdhsa_kernel
	.text
.Lfunc_end0:
	.size	fft_rtc_fwd_len480_factors_10_8_6_wgs_64_tpt_16_halfLds_half_op_CI_CI_unitstride_sbrr_R2C_dirReg, .Lfunc_end0-fft_rtc_fwd_len480_factors_10_8_6_wgs_64_tpt_16_halfLds_half_op_CI_CI_unitstride_sbrr_R2C_dirReg
                                        ; -- End function
	.section	.AMDGPU.csdata,"",@progbits
; Kernel info:
; codeLenInByte = 15980
; NumSgprs: 29
; NumVgprs: 128
; ScratchSize: 0
; MemoryBound: 0
; FloatMode: 240
; IeeeMode: 1
; LDSByteSize: 0 bytes/workgroup (compile time only)
; SGPRBlocks: 3
; VGPRBlocks: 15
; NumSGPRsForWavesPerEU: 29
; NumVGPRsForWavesPerEU: 128
; Occupancy: 8
; WaveLimiterHint : 1
; COMPUTE_PGM_RSRC2:SCRATCH_EN: 0
; COMPUTE_PGM_RSRC2:USER_SGPR: 6
; COMPUTE_PGM_RSRC2:TRAP_HANDLER: 0
; COMPUTE_PGM_RSRC2:TGID_X_EN: 1
; COMPUTE_PGM_RSRC2:TGID_Y_EN: 0
; COMPUTE_PGM_RSRC2:TGID_Z_EN: 0
; COMPUTE_PGM_RSRC2:TIDIG_COMP_CNT: 0
	.text
	.p2alignl 6, 3214868480
	.fill 48, 4, 3214868480
	.type	__hip_cuid_103f8b716151b728,@object ; @__hip_cuid_103f8b716151b728
	.section	.bss,"aw",@nobits
	.globl	__hip_cuid_103f8b716151b728
__hip_cuid_103f8b716151b728:
	.byte	0                               ; 0x0
	.size	__hip_cuid_103f8b716151b728, 1

	.ident	"AMD clang version 19.0.0git (https://github.com/RadeonOpenCompute/llvm-project roc-6.4.0 25133 c7fe45cf4b819c5991fe208aaa96edf142730f1d)"
	.section	".note.GNU-stack","",@progbits
	.addrsig
	.addrsig_sym __hip_cuid_103f8b716151b728
	.amdgpu_metadata
---
amdhsa.kernels:
  - .args:
      - .actual_access:  read_only
        .address_space:  global
        .offset:         0
        .size:           8
        .value_kind:     global_buffer
      - .offset:         8
        .size:           8
        .value_kind:     by_value
      - .actual_access:  read_only
        .address_space:  global
        .offset:         16
        .size:           8
        .value_kind:     global_buffer
      - .actual_access:  read_only
        .address_space:  global
        .offset:         24
        .size:           8
        .value_kind:     global_buffer
      - .actual_access:  read_only
        .address_space:  global
        .offset:         32
        .size:           8
        .value_kind:     global_buffer
      - .offset:         40
        .size:           8
        .value_kind:     by_value
      - .actual_access:  read_only
        .address_space:  global
        .offset:         48
        .size:           8
        .value_kind:     global_buffer
      - .actual_access:  read_only
        .address_space:  global
        .offset:         56
        .size:           8
        .value_kind:     global_buffer
      - .offset:         64
        .size:           4
        .value_kind:     by_value
      - .actual_access:  read_only
        .address_space:  global
        .offset:         72
        .size:           8
        .value_kind:     global_buffer
      - .actual_access:  read_only
        .address_space:  global
        .offset:         80
        .size:           8
        .value_kind:     global_buffer
      - .actual_access:  read_only
        .address_space:  global
        .offset:         88
        .size:           8
        .value_kind:     global_buffer
      - .actual_access:  write_only
        .address_space:  global
        .offset:         96
        .size:           8
        .value_kind:     global_buffer
    .group_segment_fixed_size: 0
    .kernarg_segment_align: 8
    .kernarg_segment_size: 104
    .language:       OpenCL C
    .language_version:
      - 2
      - 0
    .max_flat_workgroup_size: 64
    .name:           fft_rtc_fwd_len480_factors_10_8_6_wgs_64_tpt_16_halfLds_half_op_CI_CI_unitstride_sbrr_R2C_dirReg
    .private_segment_fixed_size: 0
    .sgpr_count:     29
    .sgpr_spill_count: 0
    .symbol:         fft_rtc_fwd_len480_factors_10_8_6_wgs_64_tpt_16_halfLds_half_op_CI_CI_unitstride_sbrr_R2C_dirReg.kd
    .uniform_work_group_size: 1
    .uses_dynamic_stack: false
    .vgpr_count:     128
    .vgpr_spill_count: 0
    .wavefront_size: 32
    .workgroup_processor_mode: 1
amdhsa.target:   amdgcn-amd-amdhsa--gfx1030
amdhsa.version:
  - 1
  - 2
...

	.end_amdgpu_metadata
